;; amdgpu-corpus repo=ROCm/rocFFT kind=compiled arch=gfx1100 opt=O3
	.text
	.amdgcn_target "amdgcn-amd-amdhsa--gfx1100"
	.amdhsa_code_object_version 6
	.protected	bluestein_single_back_len1750_dim1_dp_op_CI_CI ; -- Begin function bluestein_single_back_len1750_dim1_dp_op_CI_CI
	.globl	bluestein_single_back_len1750_dim1_dp_op_CI_CI
	.p2align	8
	.type	bluestein_single_back_len1750_dim1_dp_op_CI_CI,@function
bluestein_single_back_len1750_dim1_dp_op_CI_CI: ; @bluestein_single_back_len1750_dim1_dp_op_CI_CI
; %bb.0:
	s_load_b128 s[16:19], s[0:1], 0x28
	v_mul_u32_u24_e32 v1, 0x177, v0
	s_mov_b32 s2, exec_lo
	v_mov_b32_e32 v12, 0
	s_delay_alu instid0(VALU_DEP_2) | instskip(NEXT) | instid1(VALU_DEP_1)
	v_lshrrev_b32_e32 v1, 16, v1
	v_add_nc_u32_e32 v11, s15, v1
	s_waitcnt lgkmcnt(0)
	s_delay_alu instid0(VALU_DEP_1)
	v_cmpx_gt_u64_e64 s[16:17], v[11:12]
	s_cbranch_execz .LBB0_10
; %bb.1:
	s_clause 0x1
	s_load_b128 s[4:7], s[0:1], 0x18
	s_load_b128 s[8:11], s[0:1], 0x0
	v_mul_lo_u16 v1, 0xaf, v1
	s_mov_b32 s17, 0xbfe2cf23
	s_delay_alu instid0(VALU_DEP_1) | instskip(NEXT) | instid1(VALU_DEP_1)
	v_sub_nc_u16 v92, v0, v1
	v_and_b32_e32 v255, 0xffff, v92
	s_waitcnt lgkmcnt(0)
	s_load_b128 s[12:15], s[4:5], 0x0
	s_waitcnt lgkmcnt(0)
	s_delay_alu instid0(VALU_DEP_1)
	v_mad_u64_u32 v[24:25], null, s12, v255, 0
	v_mad_u64_u32 v[4:5], null, s14, v11, 0
	s_mul_hi_u32 s3, s12, 0x36b0
	s_mul_i32 s4, s12, 0x36b0
	s_mul_i32 s5, s13, 0xffffd440
	;; [unrolled: 1-line block ×3, first 2 shown]
	s_delay_alu instid0(VALU_DEP_2) | instskip(SKIP_3) | instid1(VALU_DEP_3)
	v_mov_b32_e32 v8, v25
	v_lshlrev_b32_e32 v202, 4, v255
	v_add_co_u32 v188, null, 0xaf, v255
	v_lshlrev_b32_e32 v189, 5, v255
	v_add_co_u32 v9, s2, s8, v202
	s_delay_alu instid0(VALU_DEP_1) | instskip(SKIP_1) | instid1(VALU_DEP_2)
	v_add_co_ci_u32_e64 v10, null, s9, 0, s2
	s_mul_i32 s2, s13, 0x36b0
	v_add_co_u32 v0, vcc_lo, 0x3000, v9
	s_delay_alu instid0(VALU_DEP_2)
	v_add_co_ci_u32_e32 v1, vcc_lo, 0, v10, vcc_lo
	v_add_co_u32 v2, vcc_lo, 0x4000, v9
	v_add_co_ci_u32_e32 v3, vcc_lo, 0, v10, vcc_lo
	v_add_co_u32 v6, vcc_lo, 0x1000, v9
	;; [unrolled: 2-line block ×3, first 2 shown]
	s_delay_alu instid0(VALU_DEP_3) | instskip(SKIP_3) | instid1(VALU_DEP_4)
	v_mad_u64_u32 v[25:26], null, s15, v11, v[5:6]
	v_add_co_ci_u32_e32 v33, vcc_lo, 0, v10, vcc_lo
	v_add_co_u32 v28, vcc_lo, 0x5000, v9
	v_add_co_ci_u32_e32 v29, vcc_lo, 0, v10, vcc_lo
	v_mov_b32_e32 v5, v25
	s_clause 0x2
	global_load_b128 v[13:16], v202, s[8:9]
	global_load_b128 v[113:116], v202, s[8:9] offset:2800
	global_load_b128 v[20:23], v[0:1], off offset:1712
	v_mad_u64_u32 v[0:1], null, s13, v255, v[8:9]
	v_mov_b32_e32 v12, v11
	v_add_co_u32 v36, vcc_lo, 0x6000, v9
	v_add_co_ci_u32_e32 v37, vcc_lo, 0, v10, vcc_lo
	s_add_i32 s3, s3, s2
	s_delay_alu instid0(VALU_DEP_4) | instskip(SKIP_2) | instid1(SALU_CYCLE_1)
	v_mov_b32_e32 v25, v0
	v_lshlrev_b64 v[0:1], 4, v[4:5]
	s_mul_hi_u32 s13, s12, 0xffffd440
	s_sub_i32 s2, s13, s12
	s_mov_b32 s13, 0xbfee6f0e
	s_add_i32 s2, s2, s5
	s_delay_alu instid0(VALU_DEP_1)
	v_add_co_u32 v0, vcc_lo, s18, v0
	v_add_co_ci_u32_e32 v1, vcc_lo, s19, v1, vcc_lo
	s_mov_b32 s18, 0x372fe950
	s_mov_b32 s19, 0x3fd3c6ef
	s_waitcnt vmcnt(2)
	scratch_store_b64 off, v[12:13], off    ; 8-byte Folded Spill
	s_clause 0x2
	global_load_b128 v[8:11], v[6:7], off offset:1504
	global_load_b128 v[121:124], v[2:3], off offset:416
	;; [unrolled: 1-line block ×3, first 2 shown]
	v_lshlrev_b64 v[2:3], 4, v[24:25]
	s_clause 0x1
	global_load_b128 v[24:27], v[32:33], off offset:208
	global_load_b128 v[28:31], v[28:29], off offset:1920
	v_add_co_u32 v0, vcc_lo, v0, v2
	v_add_co_ci_u32_e32 v1, vcc_lo, v1, v3, vcc_lo
	s_delay_alu instid0(VALU_DEP_2) | instskip(NEXT) | instid1(VALU_DEP_2)
	v_add_co_u32 v2, vcc_lo, v0, s4
	v_add_co_ci_u32_e32 v3, vcc_lo, s3, v1, vcc_lo
	s_clause 0x1
	global_load_b128 v[40:43], v[0:1], off
	global_load_b128 v[44:47], v[2:3], off
	v_add_co_u32 v4, vcc_lo, v2, s14
	v_add_co_ci_u32_e32 v5, vcc_lo, s2, v3, vcc_lo
	s_delay_alu instid0(VALU_DEP_2) | instskip(NEXT) | instid1(VALU_DEP_2)
	v_add_co_u32 v6, vcc_lo, v4, s4
	v_add_co_ci_u32_e32 v7, vcc_lo, s3, v5, vcc_lo
	s_clause 0x1
	global_load_b128 v[48:51], v[4:5], off
	global_load_b128 v[52:55], v[6:7], off
	v_add_co_u32 v34, vcc_lo, v6, s14
	v_add_co_ci_u32_e32 v35, vcc_lo, s2, v7, vcc_lo
	s_delay_alu instid0(VALU_DEP_2) | instskip(NEXT) | instid1(VALU_DEP_2)
	v_add_co_u32 v0, vcc_lo, v34, s4
	v_add_co_ci_u32_e32 v1, vcc_lo, s3, v35, vcc_lo
	global_load_b128 v[56:59], v[34:35], off
	v_add_co_u32 v2, vcc_lo, v0, s14
	v_add_co_ci_u32_e32 v3, vcc_lo, s2, v1, vcc_lo
	global_load_b128 v[60:63], v[0:1], off
	;; [unrolled: 3-line block ×3, first 2 shown]
	v_add_co_u32 v0, vcc_lo, v4, s14
	v_add_co_ci_u32_e32 v1, vcc_lo, s2, v5, vcc_lo
	s_mov_b32 s14, 0x4755a5e
	s_delay_alu instid0(VALU_DEP_2) | instskip(NEXT) | instid1(VALU_DEP_2)
	v_add_co_u32 v2, vcc_lo, v0, s4
	v_add_co_ci_u32_e32 v3, vcc_lo, s3, v1, vcc_lo
	global_load_b128 v[68:71], v[4:5], off
	global_load_b128 v[32:35], v[32:33], off offset:3008
	global_load_b128 v[72:75], v[0:1], off
	global_load_b128 v[36:39], v[36:37], off offset:624
	global_load_b128 v[76:79], v[2:3], off
	scratch_store_b128 off, v[13:16], off offset:8 ; 16-byte Folded Spill
	s_waitcnt vmcnt(18)
	scratch_store_b128 off, v[113:116], off offset:24 ; 16-byte Folded Spill
	s_load_b128 s[4:7], s[6:7], 0x0
	s_mov_b32 s2, 0x134454ff
	s_mov_b32 s3, 0x3fee6f0e
	;; [unrolled: 1-line block ×5, first 2 shown]
	v_cmp_gt_u16_e32 vcc_lo, 0x4b, v92
	s_waitcnt vmcnt(16)
	scratch_store_b128 off, v[8:11], off offset:40 ; 16-byte Folded Spill
	s_waitcnt vmcnt(15)
	scratch_store_b128 off, v[121:124], off offset:72 ; 16-byte Folded Spill
	;; [unrolled: 2-line block ×3, first 2 shown]
	s_waitcnt vmcnt(11)
	v_mul_f64 v[0:1], v[42:43], v[15:16]
	v_mul_f64 v[2:3], v[40:41], v[15:16]
	s_waitcnt vmcnt(10)
	v_mul_f64 v[4:5], v[46:47], v[22:23]
	v_mul_f64 v[6:7], v[44:45], v[22:23]
	;; [unrolled: 3-line block ×7, first 2 shown]
	v_fma_f64 v[40:41], v[40:41], v[13:14], v[0:1]
	s_waitcnt vmcnt(4)
	v_mul_f64 v[101:102], v[70:71], v[30:31]
	v_mul_f64 v[103:104], v[68:69], v[30:31]
	s_waitcnt vmcnt(2)
	v_mul_f64 v[105:106], v[74:75], v[34:35]
	v_mul_f64 v[107:108], v[72:73], v[34:35]
	s_waitcnt vmcnt(0)
	v_mul_f64 v[109:110], v[78:79], v[38:39]
	v_mul_f64 v[111:112], v[76:77], v[38:39]
	v_fma_f64 v[42:43], v[42:43], v[13:14], -v[2:3]
	v_fma_f64 v[44:45], v[44:45], v[20:21], v[4:5]
	v_fma_f64 v[46:47], v[46:47], v[20:21], -v[6:7]
	v_lshlrev_b16 v0, 1, v92
	v_lshlrev_b32_e32 v1, 5, v188
	v_fma_f64 v[48:49], v[48:49], v[113:114], v[80:81]
	v_fma_f64 v[50:51], v[50:51], v[113:114], -v[82:83]
	v_fma_f64 v[52:53], v[52:53], v[121:122], v[84:85]
	v_fma_f64 v[54:55], v[54:55], v[121:122], -v[86:87]
	v_and_b32_e32 v0, 0xffff, v0
	s_delay_alu instid0(VALU_DEP_1)
	v_lshlrev_b32_e32 v2, 4, v0
	v_fma_f64 v[56:57], v[56:57], v[8:9], v[88:89]
	v_fma_f64 v[58:59], v[58:59], v[8:9], -v[90:91]
	v_and_b32_e32 v8, 0xff, v92
	v_and_b32_e32 v9, 0xffff, v188
	v_fma_f64 v[60:61], v[60:61], v[117:118], v[93:94]
	v_fma_f64 v[62:63], v[62:63], v[117:118], -v[95:96]
	s_delay_alu instid0(VALU_DEP_4) | instskip(NEXT) | instid1(VALU_DEP_4)
	v_mul_lo_u16 v8, 0xcd, v8
	v_mul_u32_u24_e32 v9, 0xcccd, v9
	v_fma_f64 v[64:65], v[64:65], v[24:25], v[97:98]
	v_fma_f64 v[66:67], v[66:67], v[24:25], -v[99:100]
	s_delay_alu instid0(VALU_DEP_4) | instskip(NEXT) | instid1(VALU_DEP_4)
	v_lshrrev_b16 v8, 11, v8
	v_lshrrev_b32_e32 v9, 19, v9
	v_fma_f64 v[68:69], v[68:69], v[28:29], v[101:102]
	v_fma_f64 v[70:71], v[70:71], v[28:29], -v[103:104]
	v_fma_f64 v[72:73], v[72:73], v[32:33], v[105:106]
	v_fma_f64 v[74:75], v[74:75], v[32:33], -v[107:108]
	;; [unrolled: 2-line block ×3, first 2 shown]
	ds_store_b128 v202, v[40:43]
	ds_store_b128 v202, v[48:51] offset:2800
	ds_store_b128 v202, v[52:55] offset:16800
	;; [unrolled: 1-line block ×9, first 2 shown]
	s_waitcnt lgkmcnt(0)
	s_waitcnt_vscnt null, 0x0
	s_barrier
	buffer_gl0_inv
	ds_load_b128 v[40:43], v202 offset:14000
	ds_load_b128 v[44:47], v202
	ds_load_b128 v[48:51], v202 offset:2800
	ds_load_b128 v[52:55], v202 offset:16800
	;; [unrolled: 1-line block ×8, first 2 shown]
	s_waitcnt lgkmcnt(0)
	s_barrier
	buffer_gl0_inv
	scratch_store_b32 off, v2, off offset:100 ; 4-byte Folded Spill
	v_add_f64 v[80:81], v[44:45], -v[40:41]
	v_add_f64 v[82:83], v[46:47], -v[42:43]
	;; [unrolled: 1-line block ×10, first 2 shown]
	v_and_b32_e32 v40, 1, v255
	v_and_b32_e32 v41, 1, v188
	s_delay_alu instid0(VALU_DEP_2)
	v_lshlrev_b32_e32 v0, 6, v40
	v_fma_f64 v[42:43], v[44:45], 2.0, -v[80:81]
	v_fma_f64 v[44:45], v[46:47], 2.0, -v[82:83]
	;; [unrolled: 1-line block ×10, first 2 shown]
	ds_store_b128 v2, v[42:45]
	ds_store_b128 v2, v[80:83] offset:16
	ds_store_b128 v1, v[46:49]
	scratch_store_b32 off, v1, off offset:96 ; 4-byte Folded Spill
	ds_store_b128 v1, v[52:55] offset:16
	ds_store_b128 v189, v[60:63] offset:11200
	;; [unrolled: 1-line block ×7, first 2 shown]
	s_waitcnt lgkmcnt(0)
	s_waitcnt_vscnt null, 0x0
	s_barrier
	buffer_gl0_inv
	s_clause 0x2
	global_load_b128 v[128:131], v0, s[10:11]
	global_load_b128 v[120:123], v0, s[10:11] offset:16
	global_load_b128 v[112:115], v0, s[10:11] offset:32
	v_lshlrev_b32_e32 v1, 6, v41
	s_clause 0x4
	global_load_b128 v[100:103], v0, s[10:11] offset:48
	global_load_b128 v[108:111], v1, s[10:11]
	global_load_b128 v[124:127], v1, s[10:11] offset:16
	global_load_b128 v[116:119], v1, s[10:11] offset:32
	;; [unrolled: 1-line block ×3, first 2 shown]
	ds_load_b128 v[42:45], v202 offset:5600
	ds_load_b128 v[46:49], v202 offset:11200
	;; [unrolled: 1-line block ×8, first 2 shown]
	s_waitcnt vmcnt(7) lgkmcnt(7)
	v_mul_f64 v[0:1], v[44:45], v[130:131]
	s_waitcnt vmcnt(6) lgkmcnt(6)
	v_mul_f64 v[2:3], v[48:49], v[122:123]
	;; [unrolled: 2-line block ×4, first 2 shown]
	v_mul_f64 v[76:77], v[46:47], v[122:123]
	v_mul_f64 v[78:79], v[50:51], v[114:115]
	;; [unrolled: 1-line block ×4, first 2 shown]
	s_waitcnt vmcnt(2) lgkmcnt(2)
	v_mul_f64 v[84:85], v[64:65], v[126:127]
	s_waitcnt vmcnt(1) lgkmcnt(1)
	v_mul_f64 v[86:87], v[68:69], v[118:119]
	v_mul_f64 v[88:89], v[62:63], v[126:127]
	;; [unrolled: 1-line block ×4, first 2 shown]
	s_waitcnt vmcnt(0) lgkmcnt(0)
	v_mul_f64 v[90:91], v[72:73], v[106:107]
	v_mul_f64 v[95:96], v[58:59], v[110:111]
	;; [unrolled: 1-line block ×3, first 2 shown]
	v_fma_f64 v[0:1], v[42:43], v[128:129], -v[0:1]
	v_fma_f64 v[2:3], v[46:47], v[120:121], -v[2:3]
	;; [unrolled: 1-line block ×4, first 2 shown]
	v_fma_f64 v[54:55], v[48:49], v[120:121], v[76:77]
	v_fma_f64 v[52:53], v[52:53], v[112:113], v[78:79]
	;; [unrolled: 1-line block ×4, first 2 shown]
	v_fma_f64 v[62:63], v[62:63], v[124:125], -v[84:85]
	v_fma_f64 v[66:67], v[66:67], v[116:117], -v[86:87]
	v_fma_f64 v[64:65], v[64:65], v[124:125], v[88:89]
	v_fma_f64 v[68:69], v[68:69], v[116:117], v[93:94]
	v_fma_f64 v[58:59], v[58:59], v[108:109], -v[82:83]
	v_fma_f64 v[70:71], v[70:71], v[104:105], -v[90:91]
	v_fma_f64 v[60:61], v[60:61], v[108:109], v[95:96]
	v_fma_f64 v[72:73], v[72:73], v[104:105], v[97:98]
	ds_load_b128 v[42:45], v202
	ds_load_b128 v[46:49], v202 offset:2800
	s_waitcnt lgkmcnt(0)
	s_barrier
	buffer_gl0_inv
	v_add_f64 v[90:91], v[42:43], v[0:1]
	v_add_f64 v[74:75], v[2:3], v[4:5]
	;; [unrolled: 1-line block ×3, first 2 shown]
	v_add_f64 v[136:137], v[0:1], -v[50:51]
	v_add_f64 v[78:79], v[54:55], v[52:53]
	v_add_f64 v[97:98], v[44:45], v[6:7]
	;; [unrolled: 1-line block ×3, first 2 shown]
	v_add_f64 v[93:94], v[6:7], -v[56:57]
	v_add_f64 v[82:83], v[62:63], v[66:67]
	v_add_f64 v[95:96], v[54:55], -v[52:53]
	v_add_f64 v[86:87], v[64:65], v[68:69]
	v_add_f64 v[132:133], v[46:47], v[58:59]
	;; [unrolled: 1-line block ×5, first 2 shown]
	v_add_f64 v[138:139], v[60:61], -v[72:73]
	v_add_f64 v[140:141], v[58:59], -v[70:71]
	;; [unrolled: 1-line block ×16, first 2 shown]
	v_fma_f64 v[74:75], v[74:75], -0.5, v[42:43]
	v_fma_f64 v[42:43], v[76:77], -0.5, v[42:43]
	v_add_f64 v[76:77], v[2:3], -v[4:5]
	v_fma_f64 v[78:79], v[78:79], -0.5, v[44:45]
	v_add_f64 v[54:55], v[97:98], v[54:55]
	v_fma_f64 v[44:45], v[80:81], -0.5, v[44:45]
	v_add_f64 v[80:81], v[64:65], -v[68:69]
	v_fma_f64 v[82:83], v[82:83], -0.5, v[46:47]
	v_fma_f64 v[86:87], v[86:87], -0.5, v[48:49]
	;; [unrolled: 1-line block ×3, first 2 shown]
	v_add_f64 v[84:85], v[62:63], -v[66:67]
	v_fma_f64 v[48:49], v[88:89], -0.5, v[48:49]
	v_add_f64 v[88:89], v[0:1], -v[2:3]
	v_add_f64 v[0:1], v[2:3], -v[0:1]
	v_add_f64 v[2:3], v[90:91], v[2:3]
	v_add_f64 v[62:63], v[132:133], v[62:63]
	;; [unrolled: 1-line block ×5, first 2 shown]
	v_fma_f64 v[90:91], v[93:94], s[2:3], v[74:75]
	v_fma_f64 v[74:75], v[93:94], s[12:13], v[74:75]
	v_fma_f64 v[97:98], v[95:96], s[12:13], v[42:43]
	v_fma_f64 v[132:133], v[136:137], s[12:13], v[78:79]
	v_fma_f64 v[42:43], v[95:96], s[2:3], v[42:43]
	v_fma_f64 v[134:135], v[76:77], s[2:3], v[44:45]
	v_fma_f64 v[78:79], v[136:137], s[2:3], v[78:79]
	v_fma_f64 v[44:45], v[76:77], s[12:13], v[44:45]
	v_fma_f64 v[164:165], v[138:139], s[2:3], v[82:83]
	v_fma_f64 v[168:169], v[140:141], s[12:13], v[86:87]
	v_fma_f64 v[82:83], v[138:139], s[12:13], v[82:83]
	v_fma_f64 v[166:167], v[80:81], s[12:13], v[46:47]
	v_fma_f64 v[46:47], v[80:81], s[2:3], v[46:47]
	v_fma_f64 v[170:171], v[84:85], s[2:3], v[48:49]
	v_fma_f64 v[48:49], v[84:85], s[12:13], v[48:49]
	v_fma_f64 v[86:87], v[140:141], s[2:3], v[86:87]
	v_add_f64 v[2:3], v[2:3], v[4:5]
	v_add_f64 v[4:5], v[54:55], v[52:53]
	v_add_f64 v[88:89], v[88:89], v[142:143]
	v_add_f64 v[142:143], v[146:147], v[148:149]
	v_add_f64 v[146:147], v[58:59], v[156:157]
	v_add_f64 v[52:53], v[62:63], v[66:67]
	v_add_f64 v[0:1], v[0:1], v[144:145]
	v_add_f64 v[54:55], v[64:65], v[68:69]
	v_add_f64 v[144:145], v[152:153], v[154:155]
	v_add_f64 v[148:149], v[158:159], v[160:161]
	v_fma_f64 v[58:59], v[95:96], s[14:15], v[90:91]
	v_fma_f64 v[60:61], v[95:96], s[16:17], v[74:75]
	;; [unrolled: 1-line block ×16, first 2 shown]
	v_add_f64 v[42:43], v[2:3], v[50:51]
	v_add_f64 v[44:45], v[4:5], v[56:57]
	v_mul_lo_u16 v2, v8, 10
	v_mul_lo_u16 v3, v9, 10
	v_add_f64 v[46:47], v[52:53], v[70:71]
	v_add_f64 v[48:49], v[54:55], v[72:73]
	s_delay_alu instid0(VALU_DEP_4) | instskip(NEXT) | instid1(VALU_DEP_4)
	v_sub_nc_u16 v2, v92, v2
	v_sub_nc_u16 v10, v188, v3
	s_delay_alu instid0(VALU_DEP_2) | instskip(NEXT) | instid1(VALU_DEP_2)
	v_and_b32_e32 v11, 0xff, v2
	v_lshlrev_b16 v2, 6, v10
	s_delay_alu instid0(VALU_DEP_2)
	v_lshlrev_b32_e32 v3, 6, v11
	v_fma_f64 v[50:51], v[88:89], s[18:19], v[58:59]
	v_fma_f64 v[54:55], v[88:89], s[18:19], v[60:61]
	;; [unrolled: 1-line block ×16, first 2 shown]
	v_lshrrev_b32_e32 v0, 1, v255
	v_lshrrev_b32_e32 v1, 1, v188
	s_delay_alu instid0(VALU_DEP_2) | instskip(NEXT) | instid1(VALU_DEP_2)
	v_mul_u32_u24_e32 v0, 10, v0
	v_mul_u32_u24_e32 v1, 10, v1
	s_delay_alu instid0(VALU_DEP_2) | instskip(NEXT) | instid1(VALU_DEP_2)
	v_or_b32_e32 v0, v0, v40
	v_or_b32_e32 v1, v1, v41
	s_delay_alu instid0(VALU_DEP_2) | instskip(SKIP_1) | instid1(VALU_DEP_3)
	v_lshlrev_b32_e32 v210, 4, v0
	v_and_b32_e32 v0, 0xffff, v2
	v_lshlrev_b32_e32 v207, 4, v1
	ds_store_b128 v210, v[42:45]
	ds_store_b128 v210, v[50:53] offset:32
	ds_store_b128 v210, v[58:61] offset:64
	;; [unrolled: 1-line block ×4, first 2 shown]
	ds_store_b128 v207, v[46:49]
	ds_store_b128 v207, v[66:69] offset:32
	ds_store_b128 v207, v[74:77] offset:64
	;; [unrolled: 1-line block ×4, first 2 shown]
	v_add_co_u32 v0, s20, s10, v0
	s_delay_alu instid0(VALU_DEP_1)
	v_add_co_ci_u32_e64 v1, null, s11, 0, s20
	s_waitcnt lgkmcnt(0)
	s_barrier
	buffer_gl0_inv
	s_clause 0x7
	global_load_b128 v[68:71], v3, s[10:11] offset:160
	global_load_b128 v[80:83], v3, s[10:11] offset:144
	;; [unrolled: 1-line block ×4, first 2 shown]
	global_load_b128 v[76:79], v[0:1], off offset:128
	global_load_b128 v[88:91], v[0:1], off offset:144
	;; [unrolled: 1-line block ×4, first 2 shown]
	ds_load_b128 v[40:43], v202 offset:5600
	ds_load_b128 v[44:47], v202 offset:11200
	;; [unrolled: 1-line block ×8, first 2 shown]
	s_waitcnt vmcnt(4) lgkmcnt(4)
	v_mul_f64 v[93:94], v[54:55], v[66:67]
	v_mul_f64 v[4:5], v[50:51], v[70:71]
	;; [unrolled: 1-line block ×8, first 2 shown]
	s_waitcnt vmcnt(2) lgkmcnt(2)
	v_mul_f64 v[148:149], v[62:63], v[90:91]
	s_waitcnt vmcnt(1) lgkmcnt(1)
	v_mul_f64 v[150:151], v[134:135], v[86:87]
	v_mul_f64 v[152:153], v[60:61], v[90:91]
	;; [unrolled: 1-line block ×4, first 2 shown]
	s_waitcnt vmcnt(0) lgkmcnt(0)
	v_mul_f64 v[154:155], v[138:139], v[74:75]
	v_mul_f64 v[158:159], v[56:57], v[78:79]
	;; [unrolled: 1-line block ×3, first 2 shown]
	v_fma_f64 v[4:5], v[48:49], v[68:69], -v[4:5]
	v_fma_f64 v[2:3], v[44:45], v[80:81], -v[2:3]
	;; [unrolled: 1-line block ×3, first 2 shown]
	v_fma_f64 v[52:53], v[46:47], v[80:81], v[140:141]
	v_fma_f64 v[50:51], v[50:51], v[68:69], v[142:143]
	v_fma_f64 v[0:1], v[40:41], v[96:97], -v[0:1]
	v_fma_f64 v[6:7], v[42:43], v[96:97], v[6:7]
	v_fma_f64 v[54:55], v[54:55], v[64:65], v[144:145]
	v_fma_f64 v[60:61], v[60:61], v[88:89], -v[148:149]
	v_fma_f64 v[93:94], v[132:133], v[84:85], -v[150:151]
	v_fma_f64 v[62:63], v[62:63], v[88:89], v[152:153]
	v_fma_f64 v[134:135], v[134:135], v[84:85], v[156:157]
	v_fma_f64 v[56:57], v[56:57], v[76:77], -v[146:147]
	v_fma_f64 v[132:133], v[136:137], v[72:73], -v[154:155]
	v_fma_f64 v[58:59], v[58:59], v[76:77], v[158:159]
	v_fma_f64 v[136:137], v[138:139], v[72:73], v[160:161]
	ds_load_b128 v[40:43], v202
	ds_load_b128 v[44:47], v202 offset:2800
	s_waitcnt lgkmcnt(0)
	s_barrier
	buffer_gl0_inv
	v_add_f64 v[138:139], v[2:3], v[4:5]
	v_add_f64 v[172:173], v[48:49], -v[4:5]
	v_add_f64 v[174:175], v[4:5], -v[48:49]
	v_add_f64 v[142:143], v[52:53], v[50:51]
	v_add_f64 v[140:141], v[0:1], v[48:49]
	;; [unrolled: 1-line block ×6, first 2 shown]
	v_add_f64 v[156:157], v[6:7], -v[54:55]
	v_add_f64 v[150:151], v[62:63], v[134:135]
	v_add_f64 v[162:163], v[44:45], v[56:57]
	v_add_f64 v[148:149], v[56:57], v[132:133]
	v_add_f64 v[164:165], v[46:47], v[58:59]
	v_add_f64 v[152:153], v[58:59], v[136:137]
	v_add_f64 v[166:167], v[0:1], -v[48:49]
	v_add_f64 v[158:159], v[52:53], -v[50:51]
	;; [unrolled: 1-line block ×16, first 2 shown]
	v_fma_f64 v[138:139], v[138:139], -0.5, v[40:41]
	v_fma_f64 v[142:143], v[142:143], -0.5, v[42:43]
	;; [unrolled: 1-line block ×3, first 2 shown]
	v_add_f64 v[140:141], v[2:3], -v[4:5]
	v_fma_f64 v[42:43], v[144:145], -0.5, v[42:43]
	v_add_f64 v[144:145], v[62:63], -v[134:135]
	v_fma_f64 v[146:147], v[146:147], -0.5, v[44:45]
	v_add_f64 v[52:53], v[160:161], v[52:53]
	v_fma_f64 v[150:151], v[150:151], -0.5, v[46:47]
	v_fma_f64 v[44:45], v[148:149], -0.5, v[44:45]
	v_add_f64 v[148:149], v[60:61], -v[93:94]
	v_fma_f64 v[46:47], v[152:153], -0.5, v[46:47]
	v_add_f64 v[152:153], v[0:1], -v[2:3]
	v_add_f64 v[0:1], v[2:3], -v[0:1]
	v_add_f64 v[2:3], v[154:155], v[2:3]
	v_add_f64 v[60:61], v[162:163], v[60:61]
	;; [unrolled: 1-line block ×5, first 2 shown]
	v_fma_f64 v[154:155], v[156:157], s[2:3], v[138:139]
	v_fma_f64 v[138:139], v[156:157], s[12:13], v[138:139]
	;; [unrolled: 1-line block ×16, first 2 shown]
	v_add_f64 v[2:3], v[2:3], v[4:5]
	v_add_f64 v[4:5], v[52:53], v[50:51]
	;; [unrolled: 1-line block ×10, first 2 shown]
	s_load_b64 s[2:3], s[0:1], 0x38
	v_fma_f64 v[56:57], v[158:159], s[14:15], v[154:155]
	v_fma_f64 v[58:59], v[158:159], s[16:17], v[138:139]
	;; [unrolled: 1-line block ×16, first 2 shown]
	v_add_f64 v[40:41], v[2:3], v[48:49]
	v_add_f64 v[42:43], v[4:5], v[54:55]
                                        ; implicit-def: $vgpr164_vgpr165
                                        ; implicit-def: $vgpr168_vgpr169
	v_add_f64 v[46:47], v[52:53], v[136:137]
	v_add_f64 v[44:45], v[50:51], v[132:133]
	v_fma_f64 v[56:57], v[152:153], s[18:19], v[56:57]
	v_fma_f64 v[60:61], v[152:153], s[18:19], v[58:59]
	;; [unrolled: 1-line block ×16, first 2 shown]
	v_and_b32_e32 v0, 0xffff, v8
	v_mad_u16 v1, v9, 50, v10
                                        ; implicit-def: $vgpr160_vgpr161
                                        ; implicit-def: $vgpr172_vgpr173
	s_delay_alu instid0(VALU_DEP_2) | instskip(NEXT) | instid1(VALU_DEP_2)
	v_mul_u32_u24_e32 v0, 50, v0
	v_and_b32_e32 v1, 0xffff, v1
	s_delay_alu instid0(VALU_DEP_2) | instskip(NEXT) | instid1(VALU_DEP_2)
	v_add_lshl_u32 v206, v0, v11, 4
	v_lshlrev_b32_e32 v205, 4, v1
	ds_store_b128 v206, v[40:43]
	ds_store_b128 v206, v[56:59] offset:160
	ds_store_b128 v206, v[132:135] offset:320
	;; [unrolled: 1-line block ×4, first 2 shown]
	ds_store_b128 v205, v[44:47]
	ds_store_b128 v205, v[140:143] offset:160
	ds_store_b128 v205, v[152:155] offset:320
	ds_store_b128 v205, v[48:51] offset:480
	ds_store_b128 v205, v[52:55] offset:640
	s_waitcnt lgkmcnt(0)
	s_barrier
	buffer_gl0_inv
	ds_load_b128 v[156:159], v202
	ds_load_b128 v[140:143], v202 offset:4000
	ds_load_b128 v[136:139], v202 offset:8000
	;; [unrolled: 1-line block ×6, first 2 shown]
	s_and_saveexec_b32 s0, vcc_lo
	s_cbranch_execz .LBB0_3
; %bb.2:
	ds_load_b128 v[152:155], v202 offset:2800
	ds_load_b128 v[48:51], v202 offset:6800
	;; [unrolled: 1-line block ×7, first 2 shown]
.LBB0_3:
	s_or_b32 exec_lo, exec_lo, s0
	v_and_b32_e32 v0, 0xff, v255
	v_lshrrev_b16 v8, 1, v188
	s_mov_b32 s26, 0xe976ee23
	s_mov_b32 s27, 0xbfe11646
	;; [unrolled: 1-line block ×3, first 2 shown]
	v_mul_lo_u16 v0, v0, 41
	v_and_b32_e32 v8, 0xffff, v8
	s_mov_b32 s14, 0x429ad128
	s_mov_b32 s25, 0xbff2aaaa
	;; [unrolled: 1-line block ×3, first 2 shown]
	v_lshrrev_b16 v176, 11, v0
	v_mul_u32_u24_e32 v8, 0x147b, v8
	s_mov_b32 s28, 0x5476071b
	s_mov_b32 s12, 0x37c3f68c
	;; [unrolled: 1-line block ×3, first 2 shown]
	v_mul_lo_u16 v0, v176, 50
	v_lshrrev_b32_e32 v8, 17, v8
	s_mov_b32 s13, 0x3fdc38aa
	s_mov_b32 s16, 0x37e14327
	;; [unrolled: 1-line block ×3, first 2 shown]
	v_sub_nc_u16 v0, v255, v0
	s_mov_b32 s20, 0xb247c609
	s_mov_b32 s19, 0xbfe77f67
	;; [unrolled: 1-line block ×4, first 2 shown]
	v_and_b32_e32 v177, 0xff, v0
	s_mov_b32 s22, s20
	s_mov_b32 s18, s28
	s_delay_alu instid0(VALU_DEP_1)
	v_mad_u64_u32 v[0:1], null, 0x60, v177, s[10:11]
	s_clause 0x1
	global_load_b128 v[92:95], v[0:1], off offset:768
	global_load_b128 v[132:135], v[0:1], off offset:784
	s_waitcnt vmcnt(1) lgkmcnt(5)
	v_mul_f64 v[2:3], v[142:143], v[94:95]
	s_waitcnt vmcnt(0) lgkmcnt(4)
	v_mul_f64 v[6:7], v[138:139], v[134:135]
	v_mul_f64 v[4:5], v[140:141], v[94:95]
	s_delay_alu instid0(VALU_DEP_3) | instskip(NEXT) | instid1(VALU_DEP_3)
	v_fma_f64 v[2:3], v[140:141], v[92:93], -v[2:3]
	v_fma_f64 v[6:7], v[136:137], v[132:133], -v[6:7]
	v_mul_f64 v[136:137], v[136:137], v[134:135]
	s_delay_alu instid0(VALU_DEP_4) | instskip(NEXT) | instid1(VALU_DEP_2)
	v_fma_f64 v[4:5], v[142:143], v[92:93], v[4:5]
	v_fma_f64 v[178:179], v[138:139], v[132:133], v[136:137]
	s_clause 0x1
	global_load_b128 v[136:139], v[0:1], off offset:848
	global_load_b128 v[140:143], v[0:1], off offset:832
	s_waitcnt vmcnt(1) lgkmcnt(0)
	v_mul_f64 v[144:145], v[62:63], v[138:139]
	s_delay_alu instid0(VALU_DEP_1)
	v_fma_f64 v[180:181], v[60:61], v[136:137], -v[144:145]
	s_clause 0x1
	global_load_b128 v[144:147], v[0:1], off offset:800
	global_load_b128 v[148:151], v[0:1], off offset:816
	v_mul_f64 v[60:61], v[60:61], v[138:139]
	scratch_store_b32 off, v8, off offset:88 ; 4-byte Folded Spill
	v_mul_lo_u16 v8, v8, 50
	s_delay_alu instid0(VALU_DEP_1) | instskip(SKIP_2) | instid1(VALU_DEP_1)
	v_sub_nc_u16 v8, v188, v8
	scratch_store_b32 off, v8, off offset:92 ; 4-byte Folded Spill
	v_mul_lo_u16 v8, 0x60, v8
	v_and_b32_e32 v8, 0xffff, v8
	v_add_f64 v[196:197], v[2:3], v[180:181]
	v_add_f64 v[2:3], v[2:3], -v[180:181]
	v_fma_f64 v[182:183], v[62:63], v[136:137], v[60:61]
	s_waitcnt vmcnt(2)
	v_mul_f64 v[60:61], v[58:59], v[142:143]
	s_delay_alu instid0(VALU_DEP_2) | instskip(NEXT) | instid1(VALU_DEP_2)
	v_add_f64 v[235:236], v[4:5], v[182:183]
	v_fma_f64 v[184:185], v[56:57], v[140:141], -v[60:61]
	v_add_co_u32 v60, s0, s10, v8
	s_delay_alu instid0(VALU_DEP_1)
	v_add_co_ci_u32_e64 v61, null, s11, 0, s0
	v_mul_f64 v[56:57], v[56:57], v[142:143]
	v_add_f64 v[4:5], v[4:5], -v[182:183]
	s_mov_b32 s0, 0x36b3c0b5
	s_mov_b32 s1, 0x3fac98ee
	v_and_b32_e32 v8, 0xffff, v176
	s_delay_alu instid0(VALU_DEP_1) | instskip(NEXT) | instid1(VALU_DEP_4)
	v_mul_u32_u24_e32 v8, 0x15e, v8
	v_fma_f64 v[186:187], v[58:59], v[140:141], v[56:57]
	s_waitcnt vmcnt(1)
	v_mul_f64 v[0:1], v[46:47], v[146:147]
	s_delay_alu instid0(VALU_DEP_1) | instskip(SKIP_1) | instid1(VALU_DEP_1)
	v_fma_f64 v[0:1], v[44:45], v[144:145], -v[0:1]
	v_mul_f64 v[44:45], v[44:45], v[146:147]
	v_fma_f64 v[190:191], v[46:47], v[144:145], v[44:45]
	s_waitcnt vmcnt(0)
	v_mul_f64 v[44:45], v[42:43], v[150:151]
	s_delay_alu instid0(VALU_DEP_1) | instskip(SKIP_1) | instid1(VALU_DEP_2)
	v_fma_f64 v[192:193], v[40:41], v[148:149], -v[44:45]
	v_mul_f64 v[40:41], v[40:41], v[150:151]
	v_add_f64 v[233:234], v[0:1], v[192:193]
	s_delay_alu instid0(VALU_DEP_2)
	v_fma_f64 v[194:195], v[42:43], v[148:149], v[40:41]
	s_clause 0x1
	global_load_b128 v[40:43], v[60:61], off offset:768
	global_load_b128 v[44:47], v[60:61], off offset:784
	v_add_f64 v[0:1], v[192:193], -v[0:1]
	v_add_f64 v[237:238], v[190:191], v[194:195]
	s_waitcnt vmcnt(1)
	v_mul_f64 v[56:57], v[50:51], v[42:43]
	s_delay_alu instid0(VALU_DEP_1) | instskip(SKIP_1) | instid1(VALU_DEP_1)
	v_fma_f64 v[198:199], v[48:49], v[40:41], -v[56:57]
	v_mul_f64 v[48:49], v[48:49], v[42:43]
	v_fma_f64 v[211:212], v[50:51], v[40:41], v[48:49]
	s_waitcnt vmcnt(0)
	v_mul_f64 v[48:49], v[54:55], v[46:47]
	s_delay_alu instid0(VALU_DEP_1) | instskip(SKIP_1) | instid1(VALU_DEP_1)
	v_fma_f64 v[213:214], v[52:53], v[44:45], -v[48:49]
	v_mul_f64 v[48:49], v[52:53], v[46:47]
	v_fma_f64 v[215:216], v[54:55], v[44:45], v[48:49]
	s_clause 0x1
	global_load_b128 v[48:51], v[60:61], off offset:848
	global_load_b128 v[52:55], v[60:61], off offset:832
	s_waitcnt vmcnt(1)
	v_mul_f64 v[56:57], v[174:175], v[50:51]
	s_delay_alu instid0(VALU_DEP_1) | instskip(SKIP_2) | instid1(VALU_DEP_3)
	v_fma_f64 v[217:218], v[172:173], v[48:49], -v[56:57]
	v_mul_f64 v[56:57], v[172:173], v[50:51]
	v_add_f64 v[172:173], v[178:179], v[186:187]
	v_add_f64 v[239:240], v[198:199], v[217:218]
	s_delay_alu instid0(VALU_DEP_3) | instskip(SKIP_2) | instid1(VALU_DEP_4)
	v_fma_f64 v[219:220], v[174:175], v[48:49], v[56:57]
	s_waitcnt vmcnt(0)
	v_mul_f64 v[56:57], v[170:171], v[54:55]
	v_add_f64 v[192:193], v[237:238], -v[172:173]
	s_delay_alu instid0(VALU_DEP_3) | instskip(NEXT) | instid1(VALU_DEP_3)
	v_add_f64 v[243:244], v[211:212], v[219:220]
	v_fma_f64 v[221:222], v[168:169], v[52:53], -v[56:57]
	v_mul_f64 v[56:57], v[168:169], v[54:55]
	s_delay_alu instid0(VALU_DEP_1)
	v_fma_f64 v[223:224], v[170:171], v[52:53], v[56:57]
	s_clause 0x1
	global_load_b128 v[56:59], v[60:61], off offset:800
	global_load_b128 v[60:63], v[60:61], off offset:816
	s_waitcnt vmcnt(0)
	s_waitcnt_vscnt null, 0x0
	s_barrier
	buffer_gl0_inv
	v_add_f64 v[245:246], v[215:216], v[223:224]
	v_mul_f64 v[168:169], v[162:163], v[58:59]
	s_delay_alu instid0(VALU_DEP_1) | instskip(SKIP_3) | instid1(VALU_DEP_3)
	v_fma_f64 v[225:226], v[160:161], v[56:57], -v[168:169]
	v_mul_f64 v[160:161], v[160:161], v[58:59]
	v_add_f64 v[168:169], v[6:7], v[184:185]
	v_add_f64 v[6:7], v[6:7], -v[184:185]
	v_fma_f64 v[227:228], v[162:163], v[56:57], v[160:161]
	v_mul_f64 v[160:161], v[166:167], v[62:63]
	s_delay_alu instid0(VALU_DEP_3) | instskip(NEXT) | instid1(VALU_DEP_2)
	v_add_f64 v[180:181], v[6:7], -v[2:3]
	v_fma_f64 v[229:230], v[164:165], v[60:61], -v[160:161]
	v_mul_f64 v[160:161], v[164:165], v[62:63]
	s_delay_alu instid0(VALU_DEP_2) | instskip(NEXT) | instid1(VALU_DEP_2)
	v_add_f64 v[241:242], v[225:226], v[229:230]
	v_fma_f64 v[231:232], v[166:167], v[60:61], v[160:161]
	v_add_f64 v[160:161], v[168:169], v[196:197]
	s_delay_alu instid0(VALU_DEP_2) | instskip(NEXT) | instid1(VALU_DEP_2)
	v_add_f64 v[247:248], v[227:228], v[231:232]
	v_add_f64 v[170:171], v[233:234], v[160:161]
	;; [unrolled: 1-line block ×3, first 2 shown]
	s_delay_alu instid0(VALU_DEP_2) | instskip(NEXT) | instid1(VALU_DEP_2)
	v_add_f64 v[164:165], v[156:157], v[170:171]
	v_add_f64 v[174:175], v[237:238], v[160:161]
	;; [unrolled: 1-line block ×4, first 2 shown]
	s_delay_alu instid0(VALU_DEP_4) | instskip(NEXT) | instid1(VALU_DEP_4)
	v_fma_f64 v[208:209], v[170:171], s[24:25], v[164:165]
	v_add_f64 v[166:167], v[158:159], v[174:175]
	s_delay_alu instid0(VALU_DEP_4) | instskip(NEXT) | instid1(VALU_DEP_4)
	v_add_f64 v[158:159], v[156:157], v[239:240]
	v_add_f64 v[249:250], v[247:248], v[160:161]
	s_delay_alu instid0(VALU_DEP_3) | instskip(NEXT) | instid1(VALU_DEP_3)
	v_fma_f64 v[203:204], v[174:175], s[24:25], v[166:167]
	v_add_f64 v[158:159], v[241:242], v[158:159]
	s_delay_alu instid0(VALU_DEP_3)
	v_add_f64 v[162:163], v[154:155], v[249:250]
	v_add_f64 v[154:155], v[194:195], -v[190:191]
	v_add_f64 v[190:191], v[168:169], -v[196:197]
	;; [unrolled: 1-line block ×3, first 2 shown]
	v_mul_f64 v[172:173], v[192:193], s[0:1]
	v_add_f64 v[160:161], v[152:153], v[158:159]
	v_add_f64 v[152:153], v[178:179], -v[186:187]
	v_add_f64 v[178:179], v[0:1], -v[6:7]
	v_add_f64 v[6:7], v[0:1], v[6:7]
	v_add_f64 v[186:187], v[233:234], -v[168:169]
	v_fma_f64 v[172:173], v[194:195], s[28:29], -v[172:173]
	v_add_f64 v[0:1], v[2:3], -v[0:1]
	v_add_f64 v[182:183], v[154:155], -v[152:153]
	v_mul_f64 v[251:252], v[178:179], s[26:27]
	v_add_f64 v[184:185], v[152:153], -v[4:5]
	v_add_f64 v[152:153], v[154:155], v[152:153]
	v_add_f64 v[6:7], v[6:7], v[2:3]
	v_mul_f64 v[168:169], v[186:187], s[0:1]
	v_add_f64 v[200:201], v[172:173], v[203:204]
	v_add_f64 v[2:3], v[4:5], -v[154:155]
	v_mul_f64 v[253:254], v[182:183], s[26:27]
	v_fma_f64 v[170:171], v[180:181], s[14:15], -v[251:252]
	v_mul_f64 v[154:155], v[184:185], s[14:15]
	v_add_f64 v[152:153], v[152:153], v[4:5]
	v_mul_f64 v[4:5], v[180:181], s[14:15]
	v_fma_f64 v[168:169], v[190:191], s[28:29], -v[168:169]
	v_fma_f64 v[174:175], v[6:7], s[12:13], v[170:171]
	v_fma_f64 v[170:171], v[184:185], s[14:15], -v[253:254]
	v_fma_f64 v[154:155], v[2:3], s[22:23], -v[154:155]
	;; [unrolled: 1-line block ×3, first 2 shown]
	v_add_f64 v[182:183], v[168:169], v[208:209]
	v_fma_f64 v[0:1], v[0:1], s[20:21], v[251:252]
	v_fma_f64 v[2:3], v[2:3], s[20:21], v[253:254]
	;; [unrolled: 1-line block ×3, first 2 shown]
	v_add_f64 v[170:171], v[174:175], v[200:201]
	v_add_f64 v[174:175], v[200:201], -v[174:175]
	v_fma_f64 v[4:5], v[6:7], s[12:13], v[4:5]
	v_fma_f64 v[154:155], v[152:153], s[12:13], v[154:155]
	;; [unrolled: 1-line block ×4, first 2 shown]
	v_add_f64 v[168:169], v[182:183], -v[178:179]
	v_add_f64 v[172:173], v[178:179], v[182:183]
	v_add_f64 v[178:179], v[196:197], -v[233:234]
	v_add_f64 v[182:183], v[235:236], -v[237:238]
	s_delay_alu instid0(VALU_DEP_2) | instskip(NEXT) | instid1(VALU_DEP_2)
	v_mul_f64 v[196:197], v[178:179], s[16:17]
	v_mul_f64 v[200:201], v[182:183], s[16:17]
	s_delay_alu instid0(VALU_DEP_2) | instskip(NEXT) | instid1(VALU_DEP_2)
	v_fma_f64 v[178:179], v[190:191], s[18:19], -v[196:197]
	v_fma_f64 v[180:181], v[194:195], s[18:19], -v[200:201]
	s_delay_alu instid0(VALU_DEP_2) | instskip(NEXT) | instid1(VALU_DEP_2)
	v_add_f64 v[182:183], v[178:179], v[208:209]
	v_add_f64 v[184:185], v[180:181], v[203:204]
	s_delay_alu instid0(VALU_DEP_2) | instskip(NEXT) | instid1(VALU_DEP_2)
	v_add_f64 v[178:179], v[154:155], v[182:183]
	v_add_f64 v[180:181], v[184:185], -v[4:5]
	v_add_f64 v[182:183], v[182:183], -v[154:155]
	v_add_f64 v[184:185], v[4:5], v[184:185]
	v_fma_f64 v[4:5], v[186:187], s[0:1], v[196:197]
	v_fma_f64 v[154:155], v[192:193], s[0:1], v[200:201]
	v_add_f64 v[186:187], v[231:232], -v[227:228]
	s_delay_alu instid0(VALU_DEP_3) | instskip(NEXT) | instid1(VALU_DEP_3)
	v_add_f64 v[4:5], v[4:5], v[208:209]
	v_add_f64 v[6:7], v[154:155], v[203:204]
	v_add_f64 v[208:209], v[241:242], -v[156:157]
	s_delay_alu instid0(VALU_DEP_3) | instskip(NEXT) | instid1(VALU_DEP_3)
	v_add_f64 v[190:191], v[2:3], v[4:5]
	v_add_f64 v[192:193], v[6:7], -v[0:1]
	v_add_f64 v[194:195], v[4:5], -v[2:3]
	v_add_f64 v[196:197], v[0:1], v[6:7]
	v_add_f64 v[0:1], v[213:214], -v[221:222]
	v_add_f64 v[2:3], v[229:230], -v[225:226]
	;; [unrolled: 1-line block ×5, first 2 shown]
	v_add_lshl_u32 v211, v8, v177, 4
	ds_store_b128 v211, v[164:167]
	ds_store_b128 v211, v[190:193] offset:800
	ds_store_b128 v211, v[178:181] offset:1600
	;; [unrolled: 1-line block ×6, first 2 shown]
	v_add_f64 v[164:165], v[239:240], -v[241:242]
	v_add_f64 v[212:213], v[156:157], -v[239:240]
	;; [unrolled: 1-line block ×6, first 2 shown]
	v_add_f64 v[0:1], v[2:3], v[0:1]
	v_add_f64 v[154:155], v[186:187], -v[6:7]
	v_add_f64 v[203:204], v[6:7], -v[198:199]
	;; [unrolled: 1-line block ×3, first 2 shown]
	v_add_f64 v[6:7], v[186:187], v[6:7]
	v_add_f64 v[216:217], v[245:246], -v[243:244]
	v_fma_f64 v[222:223], v[158:159], s[24:25], v[160:161]
	v_fma_f64 v[224:225], v[249:250], s[24:25], v[162:163]
	v_mul_f64 v[164:165], v[164:165], s[16:17]
	v_mul_f64 v[218:219], v[152:153], s[26:27]
	;; [unrolled: 1-line block ×3, first 2 shown]
	v_add_f64 v[0:1], v[0:1], v[4:5]
	v_mul_f64 v[220:221], v[154:155], s[26:27]
	v_add_f64 v[4:5], v[198:199], -v[186:187]
	v_mul_f64 v[152:153], v[208:209], s[0:1]
	v_mul_f64 v[154:155], v[214:215], s[0:1]
	v_add_f64 v[6:7], v[6:7], v[198:199]
	v_fma_f64 v[176:177], v[208:209], s[0:1], v[164:165]
	v_fma_f64 v[170:171], v[2:3], s[20:21], v[218:219]
	v_fma_f64 v[2:3], v[2:3], s[22:23], -v[168:169]
	v_mul_f64 v[168:169], v[203:204], s[14:15]
	v_fma_f64 v[156:157], v[200:201], s[14:15], -v[218:219]
	v_fma_f64 v[172:173], v[4:5], s[20:21], v[220:221]
	v_fma_f64 v[152:153], v[212:213], s[28:29], -v[152:153]
	v_fma_f64 v[154:155], v[216:217], s[28:29], -v[154:155]
	v_add_f64 v[176:177], v[176:177], v[222:223]
	v_fma_f64 v[174:175], v[0:1], s[12:13], v[170:171]
	v_fma_f64 v[184:185], v[0:1], s[12:13], v[2:3]
	v_fma_f64 v[4:5], v[4:5], s[22:23], -v[168:169]
	v_fma_f64 v[168:169], v[212:213], s[18:19], -v[164:165]
	v_mul_f64 v[164:165], v[166:167], s[16:17]
	v_fma_f64 v[158:159], v[0:1], s[12:13], v[156:157]
	v_fma_f64 v[156:157], v[203:204], s[14:15], -v[220:221]
	v_add_f64 v[226:227], v[152:153], v[222:223]
	v_add_f64 v[228:229], v[154:155], v[224:225]
	v_add_nc_u32_e32 v0, 0x41a0, v189
	scratch_store_b32 off, v0, off offset:108 ; 4-byte Folded Spill
	v_add_nc_u32_e32 v0, 0x5780, v189
	scratch_store_b32 off, v0, off offset:104 ; 4-byte Folded Spill
	v_fma_f64 v[166:167], v[6:7], s[12:13], v[4:5]
	v_fma_f64 v[178:179], v[216:217], s[18:19], -v[164:165]
	v_fma_f64 v[180:181], v[214:215], s[0:1], v[164:165]
	v_fma_f64 v[156:157], v[6:7], s[12:13], v[156:157]
	;; [unrolled: 1-line block ×3, first 2 shown]
	v_add_f64 v[172:173], v[168:169], v[222:223]
	v_add_f64 v[154:155], v[158:159], v[228:229]
	v_add_f64 v[158:159], v[228:229], -v[158:159]
	v_add_nc_u32_e32 v214, 0x2bc0, v189
	v_add_f64 v[186:187], v[178:179], v[224:225]
	v_add_f64 v[178:179], v[180:181], v[224:225]
	v_add_f64 v[152:153], v[226:227], -v[156:157]
	v_add_f64 v[156:157], v[156:157], v[226:227]
	v_add_f64 v[168:169], v[172:173], -v[166:167]
	v_add_f64 v[180:181], v[176:177], -v[164:165]
	v_add_f64 v[170:171], v[184:185], v[186:187]
	v_add_f64 v[182:183], v[174:175], v[178:179]
	s_and_saveexec_b32 s0, vcc_lo
	s_cbranch_execz .LBB0_5
; %bb.4:
	s_clause 0x1
	scratch_load_b32 v0, off, off offset:88
	scratch_load_b32 v1, off, off offset:92
	v_add_f64 v[178:179], v[178:179], -v[174:175]
	v_add_f64 v[176:177], v[164:165], v[176:177]
	v_add_f64 v[186:187], v[186:187], -v[184:185]
	v_add_f64 v[184:185], v[166:167], v[172:173]
	s_waitcnt vmcnt(0)
	v_mad_u16 v0, 0x15e, v0, v1
	s_delay_alu instid0(VALU_DEP_1) | instskip(NEXT) | instid1(VALU_DEP_1)
	v_and_b32_e32 v0, 0xffff, v0
	v_lshlrev_b32_e32 v0, 4, v0
	ds_store_b128 v0, v[156:159] offset:3200
	ds_store_b128 v0, v[168:171] offset:4000
	ds_store_b128 v0, v[160:163]
	ds_store_b128 v0, v[176:179] offset:800
	ds_store_b128 v0, v[184:187] offset:1600
	;; [unrolled: 1-line block ×4, first 2 shown]
.LBB0_5:
	s_or_b32 exec_lo, exec_lo, s0
	v_lshlrev_b32_e32 v0, 6, v255
	s_waitcnt lgkmcnt(0)
	s_waitcnt_vscnt null, 0x0
	s_barrier
	buffer_gl0_inv
	v_lshlrev_b32_e32 v8, 6, v188
	v_add_co_u32 v2, s0, s10, v0
	s_delay_alu instid0(VALU_DEP_1) | instskip(SKIP_1) | instid1(VALU_DEP_2)
	v_add_co_ci_u32_e64 v3, null, s11, 0, s0
	s_mov_b32 s14, 0x134454ff
	v_add_co_u32 v0, s0, 0x1000, v2
	s_delay_alu instid0(VALU_DEP_1) | instskip(SKIP_1) | instid1(VALU_DEP_1)
	v_add_co_ci_u32_e64 v1, s0, 0, v3, s0
	v_add_co_u32 v2, s0, 0x15c0, v2
	v_add_co_ci_u32_e64 v3, s0, 0, v3, s0
	global_load_b128 v[160:163], v[0:1], off offset:1472
	ds_load_b128 v[172:175], v202 offset:5600
	ds_load_b128 v[215:218], v202 offset:8400
	v_add_co_u32 v8, s0, s10, v8
	global_load_b128 v[164:167], v[2:3], off offset:48
	v_add_co_ci_u32_e64 v9, null, s11, 0, s0
	v_add_co_u32 v223, s0, 0x15c0, v8
	s_mov_b32 s15, 0x3fee6f0e
	s_delay_alu instid0(VALU_DEP_2)
	v_add_co_ci_u32_e64 v224, s0, 0, v9, s0
	s_mov_b32 s17, 0xbfee6f0e
	s_mov_b32 s16, s14
	;; [unrolled: 1-line block ×8, first 2 shown]
	s_waitcnt vmcnt(1) lgkmcnt(1)
	v_mul_f64 v[0:1], v[174:175], v[162:163]
	v_mul_f64 v[4:5], v[172:173], v[162:163]
	s_delay_alu instid0(VALU_DEP_2) | instskip(NEXT) | instid1(VALU_DEP_2)
	v_fma_f64 v[0:1], v[172:173], v[160:161], -v[0:1]
	v_fma_f64 v[4:5], v[174:175], v[160:161], v[4:5]
	s_clause 0x1
	global_load_b128 v[176:179], v[2:3], off offset:16
	global_load_b128 v[172:175], v[2:3], off offset:32
	ds_load_b128 v[184:187], v202 offset:11200
	ds_load_b128 v[192:195], v202 offset:14000
	s_waitcnt vmcnt(1) lgkmcnt(1)
	v_mul_f64 v[2:3], v[186:187], v[178:179]
	v_mul_f64 v[6:7], v[184:185], v[178:179]
	s_delay_alu instid0(VALU_DEP_2) | instskip(NEXT) | instid1(VALU_DEP_2)
	v_fma_f64 v[2:3], v[184:185], v[176:177], -v[2:3]
	v_fma_f64 v[6:7], v[186:187], v[176:177], v[6:7]
	ds_load_b128 v[184:187], v202 offset:16800
	ds_load_b128 v[196:199], v202 offset:19600
	s_waitcnt vmcnt(0) lgkmcnt(1)
	v_mul_f64 v[189:190], v[186:187], v[174:175]
	v_add_f64 v[14:15], v[0:1], -v[2:3]
	s_delay_alu instid0(VALU_DEP_2) | instskip(SKIP_1) | instid1(VALU_DEP_2)
	v_fma_f64 v[200:201], v[184:185], v[172:173], -v[189:190]
	v_mul_f64 v[184:185], v[184:185], v[174:175]
	v_add_f64 v[241:242], v[2:3], -v[200:201]
	s_delay_alu instid0(VALU_DEP_2)
	v_fma_f64 v[203:204], v[186:187], v[172:173], v[184:185]
	ds_load_b128 v[184:187], v202 offset:22400
	ds_load_b128 v[219:222], v202 offset:25200
	s_waitcnt lgkmcnt(1)
	v_mul_f64 v[189:190], v[186:187], v[166:167]
	v_add_f64 v[237:238], v[6:7], -v[203:204]
	s_delay_alu instid0(VALU_DEP_2) | instskip(SKIP_1) | instid1(VALU_DEP_2)
	v_fma_f64 v[208:209], v[184:185], v[164:165], -v[189:190]
	v_mul_f64 v[184:185], v[184:185], v[166:167]
	v_add_f64 v[239:240], v[0:1], -v[208:209]
	s_delay_alu instid0(VALU_DEP_2)
	v_fma_f64 v[231:232], v[186:187], v[164:165], v[184:185]
	s_clause 0x1
	global_load_b128 v[188:191], v[223:224], off offset:16
	global_load_b128 v[184:187], v[223:224], off offset:32
	v_add_f64 v[235:236], v[4:5], -v[231:232]
	s_waitcnt vmcnt(1)
	v_mul_f64 v[225:226], v[194:195], v[190:191]
	s_delay_alu instid0(VALU_DEP_1) | instskip(SKIP_1) | instid1(VALU_DEP_1)
	v_fma_f64 v[247:248], v[192:193], v[188:189], -v[225:226]
	v_mul_f64 v[192:193], v[192:193], v[190:191]
	v_fma_f64 v[249:250], v[194:195], v[188:189], v[192:193]
	s_waitcnt vmcnt(0)
	v_mul_f64 v[192:193], v[198:199], v[186:187]
	s_delay_alu instid0(VALU_DEP_1) | instskip(SKIP_1) | instid1(VALU_DEP_1)
	v_fma_f64 v[251:252], v[196:197], v[184:185], -v[192:193]
	v_mul_f64 v[192:193], v[196:197], v[186:187]
	v_fma_f64 v[253:254], v[198:199], v[184:185], v[192:193]
	v_add_co_u32 v192, s0, 0x1000, v8
	s_delay_alu instid0(VALU_DEP_1)
	v_add_co_ci_u32_e64 v193, s0, 0, v9, s0
	s_clause 0x1
	global_load_b128 v[192:195], v[192:193], off offset:1472
	global_load_b128 v[196:199], v[223:224], off offset:48
	s_waitcnt vmcnt(1)
	v_mul_f64 v[223:224], v[217:218], v[194:195]
	s_waitcnt vmcnt(0) lgkmcnt(0)
	v_mul_f64 v[10:11], v[221:222], v[198:199]
	s_delay_alu instid0(VALU_DEP_2) | instskip(SKIP_2) | instid1(VALU_DEP_4)
	v_fma_f64 v[212:213], v[215:216], v[192:193], -v[223:224]
	v_mul_f64 v[215:216], v[215:216], v[194:195]
	v_add_f64 v[223:224], v[2:3], v[200:201]
	v_fma_f64 v[10:11], v[219:220], v[196:197], -v[10:11]
	s_delay_alu instid0(VALU_DEP_3) | instskip(SKIP_2) | instid1(VALU_DEP_4)
	v_fma_f64 v[8:9], v[217:218], v[192:193], v[215:216]
	v_mul_f64 v[215:216], v[219:220], v[198:199]
	v_add_f64 v[217:218], v[231:232], -v[203:204]
	v_add_f64 v[16:17], v[212:213], -v[10:11]
	s_delay_alu instid0(VALU_DEP_3) | instskip(SKIP_1) | instid1(VALU_DEP_1)
	v_fma_f64 v[12:13], v[221:222], v[196:197], v[215:216]
	v_add_f64 v[215:216], v[208:209], -v[200:201]
	v_add_f64 v[14:15], v[14:15], v[215:216]
	v_add_f64 v[215:216], v[4:5], -v[6:7]
	s_delay_alu instid0(VALU_DEP_1)
	v_add_f64 v[229:230], v[215:216], v[217:218]
	ds_load_b128 v[215:218], v202
	ds_load_b128 v[219:222], v202 offset:2800
	s_waitcnt lgkmcnt(1)
	v_fma_f64 v[227:228], v[223:224], -0.5, v[215:216]
	v_add_f64 v[223:224], v[6:7], v[203:204]
	s_delay_alu instid0(VALU_DEP_1) | instskip(NEXT) | instid1(VALU_DEP_3)
	v_fma_f64 v[233:234], v[223:224], -0.5, v[217:218]
	v_fma_f64 v[223:224], v[235:236], s[14:15], v[227:228]
	v_fma_f64 v[227:228], v[235:236], s[16:17], v[227:228]
	s_delay_alu instid0(VALU_DEP_3) | instskip(SKIP_1) | instid1(VALU_DEP_4)
	v_fma_f64 v[225:226], v[239:240], s[16:17], v[233:234]
	v_fma_f64 v[233:234], v[239:240], s[14:15], v[233:234]
	;; [unrolled: 1-line block ×3, first 2 shown]
	s_delay_alu instid0(VALU_DEP_4) | instskip(NEXT) | instid1(VALU_DEP_4)
	v_fma_f64 v[227:228], v[237:238], s[12:13], v[227:228]
	v_fma_f64 v[225:226], v[241:242], s[12:13], v[225:226]
	s_delay_alu instid0(VALU_DEP_4) | instskip(NEXT) | instid1(VALU_DEP_4)
	v_fma_f64 v[233:234], v[241:242], s[10:11], v[233:234]
	v_fma_f64 v[223:224], v[14:15], s[18:19], v[223:224]
	s_delay_alu instid0(VALU_DEP_4) | instskip(SKIP_4) | instid1(VALU_DEP_4)
	v_fma_f64 v[227:228], v[14:15], s[18:19], v[227:228]
	v_add_f64 v[14:15], v[0:1], v[208:209]
	v_fma_f64 v[225:226], v[229:230], s[18:19], v[225:226]
	v_fma_f64 v[229:230], v[229:230], s[18:19], v[233:234]
	v_add_f64 v[233:234], v[4:5], v[231:232]
	v_fma_f64 v[14:15], v[14:15], -0.5, v[215:216]
	v_add_f64 v[215:216], v[215:216], v[0:1]
	v_add_f64 v[0:1], v[2:3], -v[0:1]
	s_delay_alu instid0(VALU_DEP_4) | instskip(SKIP_3) | instid1(VALU_DEP_3)
	v_fma_f64 v[233:234], v[233:234], -0.5, v[217:218]
	v_add_f64 v[217:218], v[217:218], v[4:5]
	v_add_f64 v[4:5], v[6:7], -v[4:5]
	v_add_f64 v[2:3], v[215:216], v[2:3]
	v_add_f64 v[215:216], v[217:218], v[6:7]
	s_delay_alu instid0(VALU_DEP_2) | instskip(SKIP_1) | instid1(VALU_DEP_3)
	v_add_f64 v[2:3], v[2:3], v[200:201]
	v_add_f64 v[200:201], v[200:201], -v[208:209]
	v_add_f64 v[6:7], v[215:216], v[203:204]
	s_delay_alu instid0(VALU_DEP_3)
	v_add_f64 v[215:216], v[2:3], v[208:209]
	v_add_f64 v[2:3], v[203:204], -v[231:232]
	v_fma_f64 v[203:204], v[241:242], s[14:15], v[233:234]
	v_fma_f64 v[208:209], v[241:242], s[16:17], v[233:234]
	v_add_f64 v[0:1], v[0:1], v[200:201]
	v_add_f64 v[217:218], v[6:7], v[231:232]
	v_fma_f64 v[6:7], v[237:238], s[16:17], v[14:15]
	v_fma_f64 v[14:15], v[237:238], s[14:15], v[14:15]
	v_add_f64 v[2:3], v[4:5], v[2:3]
	v_fma_f64 v[200:201], v[239:240], s[10:11], v[208:209]
	v_add_f64 v[208:209], v[247:248], -v[251:252]
	v_fma_f64 v[4:5], v[235:236], s[10:11], v[6:7]
	v_fma_f64 v[6:7], v[235:236], s[12:13], v[14:15]
	;; [unrolled: 1-line block ×4, first 2 shown]
	v_add_f64 v[200:201], v[8:9], -v[12:13]
	v_fma_f64 v[231:232], v[0:1], s[18:19], v[4:5]
	v_fma_f64 v[235:236], v[0:1], s[18:19], v[6:7]
	;; [unrolled: 1-line block ×3, first 2 shown]
	v_add_f64 v[0:1], v[247:248], -v[212:213]
	v_add_f64 v[2:3], v[251:252], -v[10:11]
	;; [unrolled: 1-line block ×3, first 2 shown]
	v_add_f64 v[6:7], v[8:9], v[12:13]
	v_add_f64 v[14:15], v[249:250], -v[253:254]
	s_delay_alu instid0(VALU_DEP_4) | instskip(SKIP_2) | instid1(VALU_DEP_4)
	v_add_f64 v[0:1], v[0:1], v[2:3]
	v_add_f64 v[2:3], v[249:250], -v[8:9]
	s_waitcnt lgkmcnt(0)
	v_fma_f64 v[6:7], v[6:7], -0.5, v[221:222]
	s_delay_alu instid0(VALU_DEP_2) | instskip(SKIP_1) | instid1(VALU_DEP_3)
	v_add_f64 v[2:3], v[2:3], v[4:5]
	v_add_f64 v[4:5], v[212:213], v[10:11]
	v_fma_f64 v[18:19], v[208:209], s[14:15], v[6:7]
	v_fma_f64 v[6:7], v[208:209], s[16:17], v[6:7]
	s_delay_alu instid0(VALU_DEP_3) | instskip(NEXT) | instid1(VALU_DEP_3)
	v_fma_f64 v[4:5], v[4:5], -0.5, v[219:220]
	v_fma_f64 v[18:19], v[16:17], s[12:13], v[18:19]
	s_delay_alu instid0(VALU_DEP_3) | instskip(NEXT) | instid1(VALU_DEP_3)
	v_fma_f64 v[6:7], v[16:17], s[10:11], v[6:7]
	v_fma_f64 v[203:204], v[14:15], s[16:17], v[4:5]
	;; [unrolled: 1-line block ×3, first 2 shown]
	s_delay_alu instid0(VALU_DEP_3)
	v_fma_f64 v[245:246], v[2:3], s[18:19], v[6:7]
	v_add_f64 v[6:7], v[221:222], v[8:9]
	v_fma_f64 v[241:242], v[2:3], s[18:19], v[18:19]
	v_add_f64 v[2:3], v[249:250], v[253:254]
	v_add_f64 v[18:19], v[212:213], -v[247:248]
	v_add_f64 v[8:9], v[8:9], -v[249:250]
	v_fma_f64 v[203:204], v[200:201], s[10:11], v[203:204]
	v_fma_f64 v[4:5], v[200:201], s[12:13], v[4:5]
	v_add_f64 v[6:7], v[6:7], v[249:250]
	v_fma_f64 v[2:3], v[2:3], -0.5, v[221:222]
	s_delay_alu instid0(VALU_DEP_4) | instskip(NEXT) | instid1(VALU_DEP_4)
	v_fma_f64 v[239:240], v[0:1], s[18:19], v[203:204]
	v_fma_f64 v[243:244], v[0:1], s[18:19], v[4:5]
	v_add_f64 v[4:5], v[219:220], v[212:213]
	v_add_f64 v[0:1], v[247:248], v[251:252]
	;; [unrolled: 1-line block ×3, first 2 shown]
	v_add_f64 v[203:204], v[10:11], -v[251:252]
	s_delay_alu instid0(VALU_DEP_4) | instskip(NEXT) | instid1(VALU_DEP_4)
	v_add_f64 v[4:5], v[4:5], v[247:248]
	v_fma_f64 v[0:1], v[0:1], -0.5, v[219:220]
	s_delay_alu instid0(VALU_DEP_4) | instskip(NEXT) | instid1(VALU_DEP_3)
	v_add_f64 v[221:222], v[6:7], v[12:13]
	v_add_f64 v[4:5], v[4:5], v[251:252]
	s_delay_alu instid0(VALU_DEP_3) | instskip(SKIP_1) | instid1(VALU_DEP_3)
	v_fma_f64 v[6:7], v[200:201], s[14:15], v[0:1]
	v_fma_f64 v[0:1], v[200:201], s[16:17], v[0:1]
	v_add_f64 v[219:220], v[4:5], v[10:11]
	v_add_f64 v[4:5], v[12:13], -v[253:254]
	v_fma_f64 v[10:11], v[16:17], s[16:17], v[2:3]
	v_fma_f64 v[2:3], v[16:17], s[14:15], v[2:3]
	v_add_f64 v[12:13], v[18:19], v[203:204]
	v_fma_f64 v[6:7], v[14:15], s[10:11], v[6:7]
	v_fma_f64 v[0:1], v[14:15], s[12:13], v[0:1]
	v_add_f64 v[4:5], v[8:9], v[4:5]
	v_fma_f64 v[8:9], v[208:209], s[12:13], v[10:11]
	v_fma_f64 v[2:3], v[208:209], s[10:11], v[2:3]
	;; [unrolled: 1-line block ×4, first 2 shown]
	v_lshlrev_b32_e32 v0, 4, v255
	s_delay_alu instid0(VALU_DEP_1) | instskip(NEXT) | instid1(VALU_DEP_1)
	v_add_co_u32 v10, s0, s8, v0
	v_add_co_ci_u32_e64 v11, null, s9, 0, s0
	s_delay_alu instid0(VALU_DEP_2) | instskip(NEXT) | instid1(VALU_DEP_1)
	v_add_co_u32 v0, s0, 0x6000, v10
	v_add_co_ci_u32_e64 v1, s0, 0, v11, s0
	v_fma_f64 v[249:250], v[4:5], s[18:19], v[8:9]
	v_fma_f64 v[253:254], v[4:5], s[18:19], v[2:3]
	v_add_co_u32 v2, s0, 0x6d60, v10
	s_delay_alu instid0(VALU_DEP_1)
	v_add_co_ci_u32_e64 v3, s0, 0, v11, s0
	ds_store_b128 v202, v[215:218]
	ds_store_b128 v202, v[219:222] offset:2800
	ds_store_b128 v202, v[223:226] offset:5600
	;; [unrolled: 1-line block ×9, first 2 shown]
	s_waitcnt lgkmcnt(0)
	s_barrier
	buffer_gl0_inv
	s_clause 0x1
	global_load_b128 v[215:218], v[0:1], off offset:3424
	global_load_b128 v[219:222], v[2:3], off offset:2800
	ds_load_b128 v[223:226], v202
	ds_load_b128 v[227:230], v202 offset:2800
	s_waitcnt vmcnt(1) lgkmcnt(1)
	v_mul_f64 v[0:1], v[225:226], v[217:218]
	v_mul_f64 v[2:3], v[223:224], v[217:218]
	s_delay_alu instid0(VALU_DEP_2) | instskip(SKIP_1) | instid1(VALU_DEP_1)
	v_fma_f64 v[223:224], v[223:224], v[215:216], -v[0:1]
	v_add_co_u32 v0, s0, 0xa000, v10
	v_add_co_ci_u32_e64 v1, s0, 0, v11, s0
	s_delay_alu instid0(VALU_DEP_4)
	v_fma_f64 v[225:226], v[225:226], v[215:216], v[2:3]
	s_clause 0x1
	global_load_b128 v[215:218], v[0:1], off offset:1040
	global_load_b128 v[231:234], v[0:1], off offset:3840
	ds_load_b128 v[235:238], v202 offset:14000
	ds_load_b128 v[239:242], v202 offset:11200
	s_waitcnt vmcnt(1) lgkmcnt(1)
	v_mul_f64 v[0:1], v[237:238], v[217:218]
	v_mul_f64 v[2:3], v[235:236], v[217:218]
	s_delay_alu instid0(VALU_DEP_2) | instskip(NEXT) | instid1(VALU_DEP_2)
	v_fma_f64 v[235:236], v[235:236], v[215:216], -v[0:1]
	v_fma_f64 v[237:238], v[237:238], v[215:216], v[2:3]
	v_mul_f64 v[0:1], v[229:230], v[221:222]
	v_mul_f64 v[2:3], v[227:228], v[221:222]
	s_delay_alu instid0(VALU_DEP_2) | instskip(NEXT) | instid1(VALU_DEP_2)
	v_fma_f64 v[215:216], v[227:228], v[219:220], -v[0:1]
	v_fma_f64 v[217:218], v[229:230], v[219:220], v[2:3]
	ds_load_b128 v[219:222], v202 offset:16800
	ds_load_b128 v[227:230], v202 offset:19600
	s_waitcnt vmcnt(0) lgkmcnt(1)
	v_mul_f64 v[0:1], v[221:222], v[233:234]
	v_mul_f64 v[2:3], v[219:220], v[233:234]
	s_delay_alu instid0(VALU_DEP_2) | instskip(SKIP_1) | instid1(VALU_DEP_1)
	v_fma_f64 v[219:220], v[219:220], v[231:232], -v[0:1]
	v_add_co_u32 v0, s0, 0x8000, v10
	v_add_co_ci_u32_e64 v1, s0, 0, v11, s0
	s_delay_alu instid0(VALU_DEP_4)
	v_fma_f64 v[221:222], v[221:222], v[231:232], v[2:3]
	s_clause 0x1
	global_load_b128 v[231:234], v[0:1], off offset:832
	global_load_b128 v[243:246], v[0:1], off offset:3632
	ds_load_b128 v[247:250], v202 offset:5600
	ds_load_b128 v[251:254], v202 offset:8400
	s_waitcnt vmcnt(1) lgkmcnt(1)
	v_mul_f64 v[0:1], v[249:250], v[233:234]
	v_mul_f64 v[2:3], v[247:248], v[233:234]
	s_delay_alu instid0(VALU_DEP_2) | instskip(SKIP_1) | instid1(VALU_DEP_1)
	v_fma_f64 v[247:248], v[247:248], v[231:232], -v[0:1]
	v_add_co_u32 v0, s0, 0xb000, v10
	v_add_co_ci_u32_e64 v1, s0, 0, v11, s0
	v_add_co_u32 v4, s0, 0xc000, v10
	s_delay_alu instid0(VALU_DEP_1)
	v_add_co_ci_u32_e64 v5, s0, 0, v11, s0
	v_fma_f64 v[249:250], v[249:250], v[231:232], v[2:3]
	s_clause 0x1
	global_load_b128 v[231:234], v[0:1], off offset:2544
	global_load_b128 v[0:3], v[4:5], off offset:1248
	s_waitcnt vmcnt(1)
	v_mul_f64 v[6:7], v[229:230], v[233:234]
	v_mul_f64 v[8:9], v[227:228], v[233:234]
	s_delay_alu instid0(VALU_DEP_2) | instskip(NEXT) | instid1(VALU_DEP_2)
	v_fma_f64 v[227:228], v[227:228], v[231:232], -v[6:7]
	v_fma_f64 v[229:230], v[229:230], v[231:232], v[8:9]
	s_waitcnt lgkmcnt(0)
	v_mul_f64 v[6:7], v[253:254], v[245:246]
	v_mul_f64 v[8:9], v[251:252], v[245:246]
	s_delay_alu instid0(VALU_DEP_2) | instskip(NEXT) | instid1(VALU_DEP_2)
	v_fma_f64 v[231:232], v[251:252], v[243:244], -v[6:7]
	v_fma_f64 v[233:234], v[253:254], v[243:244], v[8:9]
	ds_load_b128 v[243:246], v202 offset:22400
	ds_load_b128 v[251:254], v202 offset:25200
	s_waitcnt vmcnt(0) lgkmcnt(1)
	v_mul_f64 v[6:7], v[245:246], v[2:3]
	v_mul_f64 v[2:3], v[243:244], v[2:3]
	s_delay_alu instid0(VALU_DEP_2) | instskip(NEXT) | instid1(VALU_DEP_2)
	v_fma_f64 v[243:244], v[243:244], v[0:1], -v[6:7]
	v_fma_f64 v[245:246], v[245:246], v[0:1], v[2:3]
	v_add_co_u32 v0, s0, 0x9000, v10
	s_delay_alu instid0(VALU_DEP_1)
	v_add_co_ci_u32_e64 v1, s0, 0, v11, s0
	s_clause 0x1
	global_load_b128 v[0:3], v[0:1], off offset:2336
	global_load_b128 v[4:7], v[4:5], off offset:4048
	s_waitcnt vmcnt(1)
	v_mul_f64 v[8:9], v[241:242], v[2:3]
	v_mul_f64 v[2:3], v[239:240], v[2:3]
	s_delay_alu instid0(VALU_DEP_2) | instskip(NEXT) | instid1(VALU_DEP_2)
	v_fma_f64 v[239:240], v[239:240], v[0:1], -v[8:9]
	v_fma_f64 v[241:242], v[241:242], v[0:1], v[2:3]
	s_waitcnt vmcnt(0) lgkmcnt(0)
	v_mul_f64 v[0:1], v[253:254], v[6:7]
	v_mul_f64 v[2:3], v[251:252], v[6:7]
	s_delay_alu instid0(VALU_DEP_2) | instskip(NEXT) | instid1(VALU_DEP_2)
	v_fma_f64 v[0:1], v[251:252], v[4:5], -v[0:1]
	v_fma_f64 v[2:3], v[253:254], v[4:5], v[2:3]
	ds_store_b128 v202, v[223:226]
	ds_store_b128 v202, v[215:218] offset:2800
	ds_store_b128 v202, v[219:222] offset:16800
	;; [unrolled: 1-line block ×9, first 2 shown]
	s_waitcnt lgkmcnt(0)
	s_barrier
	buffer_gl0_inv
	ds_load_b128 v[0:3], v202 offset:14000
	ds_load_b128 v[4:7], v202
	ds_load_b128 v[215:218], v202 offset:2800
	ds_load_b128 v[219:222], v202 offset:11200
	;; [unrolled: 1-line block ×8, first 2 shown]
	s_waitcnt lgkmcnt(0)
	s_barrier
	buffer_gl0_inv
	scratch_load_b32 v8, off, off offset:100 ; 4-byte Folded Reload
	v_add_f64 v[0:1], v[4:5], -v[0:1]
	v_add_f64 v[2:3], v[6:7], -v[2:3]
	s_delay_alu instid0(VALU_DEP_2) | instskip(NEXT) | instid1(VALU_DEP_2)
	v_fma_f64 v[4:5], v[4:5], 2.0, -v[0:1]
	v_fma_f64 v[6:7], v[6:7], 2.0, -v[2:3]
	s_waitcnt vmcnt(0)
	ds_store_b128 v8, v[0:3] offset:16
	ds_store_b128 v8, v[4:7]
	scratch_load_b32 v8, off, off offset:96 ; 4-byte Folded Reload
	v_add_f64 v[0:1], v[215:216], -v[223:224]
	v_add_f64 v[2:3], v[217:218], -v[225:226]
	s_delay_alu instid0(VALU_DEP_2) | instskip(NEXT) | instid1(VALU_DEP_2)
	v_fma_f64 v[4:5], v[215:216], 2.0, -v[0:1]
	v_fma_f64 v[6:7], v[217:218], 2.0, -v[2:3]
	s_waitcnt vmcnt(0)
	ds_store_b128 v8, v[0:3] offset:16
	ds_store_b128 v8, v[4:7]
	v_add_f64 v[0:1], v[231:232], -v[227:228]
	v_add_f64 v[2:3], v[233:234], -v[229:230]
	s_delay_alu instid0(VALU_DEP_2) | instskip(NEXT) | instid1(VALU_DEP_2)
	v_fma_f64 v[4:5], v[231:232], 2.0, -v[0:1]
	v_fma_f64 v[6:7], v[233:234], 2.0, -v[2:3]
	ds_store_b128 v214, v[0:3] offset:16
	ds_store_b128 v214, v[4:7]
	scratch_load_b32 v8, off, off offset:108 ; 4-byte Folded Reload
	v_add_f64 v[0:1], v[235:236], -v[239:240]
	v_add_f64 v[2:3], v[237:238], -v[241:242]
	s_delay_alu instid0(VALU_DEP_2) | instskip(NEXT) | instid1(VALU_DEP_2)
	v_fma_f64 v[4:5], v[235:236], 2.0, -v[0:1]
	v_fma_f64 v[6:7], v[237:238], 2.0, -v[2:3]
	s_waitcnt vmcnt(0)
	ds_store_b128 v8, v[0:3] offset:16
	ds_store_b128 v8, v[4:7]
	scratch_load_b32 v8, off, off offset:104 ; 4-byte Folded Reload
	v_add_f64 v[0:1], v[219:220], -v[243:244]
	v_add_f64 v[2:3], v[221:222], -v[245:246]
	s_delay_alu instid0(VALU_DEP_2) | instskip(NEXT) | instid1(VALU_DEP_2)
	v_fma_f64 v[4:5], v[219:220], 2.0, -v[0:1]
	v_fma_f64 v[6:7], v[221:222], 2.0, -v[2:3]
	s_waitcnt vmcnt(0)
	ds_store_b128 v8, v[0:3] offset:16
	ds_store_b128 v8, v[4:7]
	s_waitcnt lgkmcnt(0)
	s_barrier
	buffer_gl0_inv
	ds_load_b128 v[0:3], v202 offset:5600
	ds_load_b128 v[4:7], v202 offset:8400
	s_waitcnt lgkmcnt(1)
	v_mul_f64 v[8:9], v[130:131], v[2:3]
	s_delay_alu instid0(VALU_DEP_1) | instskip(SKIP_1) | instid1(VALU_DEP_1)
	v_fma_f64 v[8:9], v[128:129], v[0:1], v[8:9]
	v_mul_f64 v[0:1], v[130:131], v[0:1]
	v_fma_f64 v[10:11], v[128:129], v[2:3], -v[0:1]
	ds_load_b128 v[0:3], v202 offset:11200
	ds_load_b128 v[128:131], v202 offset:14000
	s_waitcnt lgkmcnt(1)
	v_mul_f64 v[12:13], v[122:123], v[2:3]
	s_delay_alu instid0(VALU_DEP_1) | instskip(SKIP_1) | instid1(VALU_DEP_1)
	v_fma_f64 v[12:13], v[120:121], v[0:1], v[12:13]
	v_mul_f64 v[0:1], v[122:123], v[0:1]
	v_fma_f64 v[14:15], v[120:121], v[2:3], -v[0:1]
	;; [unrolled: 8-line block ×3, first 2 shown]
	ds_load_b128 v[0:3], v202 offset:22400
	ds_load_b128 v[112:115], v202 offset:25200
	s_waitcnt lgkmcnt(1)
	v_mul_f64 v[200:201], v[102:103], v[2:3]
	s_delay_alu instid0(VALU_DEP_1) | instskip(SKIP_1) | instid1(VALU_DEP_2)
	v_fma_f64 v[200:201], v[100:101], v[0:1], v[200:201]
	v_mul_f64 v[0:1], v[102:103], v[0:1]
	v_add_f64 v[212:213], v[8:9], -v[200:201]
	s_delay_alu instid0(VALU_DEP_2) | instskip(SKIP_3) | instid1(VALU_DEP_3)
	v_fma_f64 v[203:204], v[100:101], v[2:3], -v[0:1]
	v_mul_f64 v[0:1], v[126:127], v[130:131]
	v_add_f64 v[2:3], v[16:17], -v[200:201]
	v_add_f64 v[100:101], v[8:9], v[200:201]
	v_fma_f64 v[208:209], v[124:125], v[128:129], v[0:1]
	v_mul_f64 v[0:1], v[126:127], v[128:129]
	s_delay_alu instid0(VALU_DEP_1) | instskip(SKIP_2) | instid1(VALU_DEP_2)
	v_fma_f64 v[124:125], v[124:125], v[130:131], -v[0:1]
	v_mul_f64 v[0:1], v[118:119], v[122:123]
	v_add_f64 v[130:131], v[12:13], -v[16:17]
	v_fma_f64 v[126:127], v[116:117], v[120:121], v[0:1]
	v_mul_f64 v[0:1], v[118:119], v[120:121]
	s_delay_alu instid0(VALU_DEP_1) | instskip(SKIP_1) | instid1(VALU_DEP_1)
	v_fma_f64 v[116:117], v[116:117], v[122:123], -v[0:1]
	v_mul_f64 v[0:1], v[110:111], v[6:7]
	v_fma_f64 v[118:119], v[108:109], v[4:5], v[0:1]
	v_mul_f64 v[0:1], v[110:111], v[4:5]
	s_delay_alu instid0(VALU_DEP_1) | instskip(SKIP_2) | instid1(VALU_DEP_1)
	v_fma_f64 v[120:121], v[108:109], v[6:7], -v[0:1]
	s_waitcnt lgkmcnt(0)
	v_mul_f64 v[0:1], v[106:107], v[114:115]
	v_fma_f64 v[122:123], v[104:105], v[112:113], v[0:1]
	v_mul_f64 v[0:1], v[106:107], v[112:113]
	v_add_f64 v[112:113], v[14:15], -v[18:19]
	s_delay_alu instid0(VALU_DEP_2) | instskip(SKIP_2) | instid1(VALU_DEP_2)
	v_fma_f64 v[128:129], v[104:105], v[114:115], -v[0:1]
	v_add_f64 v[0:1], v[12:13], -v[8:9]
	v_add_f64 v[114:115], v[10:11], -v[203:204]
	v_add_f64 v[104:105], v[0:1], v[2:3]
	v_add_f64 v[0:1], v[14:15], -v[10:11]
	v_add_f64 v[2:3], v[18:19], -v[203:204]
	s_delay_alu instid0(VALU_DEP_1)
	v_add_f64 v[106:107], v[0:1], v[2:3]
	ds_load_b128 v[0:3], v202
	ds_load_b128 v[4:7], v202 offset:2800
	s_waitcnt lgkmcnt(0)
	s_barrier
	buffer_gl0_inv
	v_fma_f64 v[108:109], v[100:101], -0.5, v[0:1]
	v_add_f64 v[100:101], v[10:11], v[203:204]
	s_delay_alu instid0(VALU_DEP_1) | instskip(NEXT) | instid1(VALU_DEP_3)
	v_fma_f64 v[110:111], v[100:101], -0.5, v[2:3]
	v_fma_f64 v[100:101], v[112:113], s[14:15], v[108:109]
	v_fma_f64 v[108:109], v[112:113], s[16:17], v[108:109]
	s_delay_alu instid0(VALU_DEP_3) | instskip(SKIP_1) | instid1(VALU_DEP_4)
	v_fma_f64 v[102:103], v[130:131], s[16:17], v[110:111]
	v_fma_f64 v[110:111], v[130:131], s[14:15], v[110:111]
	;; [unrolled: 1-line block ×3, first 2 shown]
	s_delay_alu instid0(VALU_DEP_4) | instskip(NEXT) | instid1(VALU_DEP_4)
	v_fma_f64 v[108:109], v[114:115], s[10:11], v[108:109]
	v_fma_f64 v[102:103], v[212:213], s[10:11], v[102:103]
	s_delay_alu instid0(VALU_DEP_4) | instskip(NEXT) | instid1(VALU_DEP_4)
	v_fma_f64 v[110:111], v[212:213], s[12:13], v[110:111]
	v_fma_f64 v[100:101], v[104:105], s[18:19], v[100:101]
	s_delay_alu instid0(VALU_DEP_4) | instskip(SKIP_4) | instid1(VALU_DEP_4)
	v_fma_f64 v[104:105], v[104:105], s[18:19], v[108:109]
	v_add_f64 v[108:109], v[12:13], v[16:17]
	v_fma_f64 v[102:103], v[106:107], s[18:19], v[102:103]
	v_fma_f64 v[106:107], v[106:107], s[18:19], v[110:111]
	v_add_f64 v[110:111], v[14:15], v[18:19]
	v_fma_f64 v[108:109], v[108:109], -0.5, v[0:1]
	v_add_f64 v[0:1], v[0:1], v[8:9]
	v_add_f64 v[8:9], v[8:9], -v[12:13]
	s_delay_alu instid0(VALU_DEP_4) | instskip(SKIP_4) | instid1(VALU_DEP_4)
	v_fma_f64 v[110:111], v[110:111], -0.5, v[2:3]
	v_add_f64 v[2:3], v[2:3], v[10:11]
	v_add_f64 v[10:11], v[10:11], -v[14:15]
	v_add_f64 v[0:1], v[0:1], v[12:13]
	v_add_f64 v[12:13], v[200:201], -v[16:17]
	;; [unrolled: 2-line block ×3, first 2 shown]
	s_delay_alu instid0(VALU_DEP_4)
	v_add_f64 v[0:1], v[0:1], v[16:17]
	v_fma_f64 v[16:17], v[114:115], s[16:17], v[108:109]
	v_add_f64 v[8:9], v[8:9], v[12:13]
	v_add_f64 v[2:3], v[2:3], v[18:19]
	v_fma_f64 v[18:19], v[114:115], s[14:15], v[108:109]
	v_fma_f64 v[108:109], v[212:213], s[14:15], v[110:111]
	;; [unrolled: 1-line block ×3, first 2 shown]
	v_add_f64 v[10:11], v[10:11], v[14:15]
	v_fma_f64 v[12:13], v[112:113], s[12:13], v[16:17]
	v_add_f64 v[0:1], v[0:1], v[200:201]
	v_add_f64 v[2:3], v[2:3], v[203:204]
	v_fma_f64 v[14:15], v[112:113], s[10:11], v[18:19]
	v_fma_f64 v[16:17], v[130:131], s[10:11], v[108:109]
	;; [unrolled: 1-line block ×4, first 2 shown]
	s_delay_alu instid0(VALU_DEP_4) | instskip(NEXT) | instid1(VALU_DEP_4)
	v_fma_f64 v[112:113], v[8:9], s[18:19], v[14:15]
	v_fma_f64 v[110:111], v[10:11], s[18:19], v[16:17]
	s_delay_alu instid0(VALU_DEP_4)
	v_fma_f64 v[114:115], v[10:11], s[18:19], v[18:19]
	ds_store_b128 v210, v[0:3]
	ds_store_b128 v210, v[108:111] offset:32
	ds_store_b128 v210, v[100:103] offset:64
	;; [unrolled: 1-line block ×4, first 2 shown]
	v_add_f64 v[0:1], v[208:209], -v[118:119]
	v_add_f64 v[2:3], v[126:127], -v[122:123]
	;; [unrolled: 1-line block ×8, first 2 shown]
	v_add_f64 v[8:9], v[0:1], v[2:3]
	v_add_f64 v[0:1], v[124:125], -v[120:121]
	v_add_f64 v[2:3], v[116:117], -v[128:129]
	s_delay_alu instid0(VALU_DEP_1) | instskip(SKIP_1) | instid1(VALU_DEP_1)
	v_add_f64 v[10:11], v[0:1], v[2:3]
	v_add_f64 v[0:1], v[118:119], v[122:123]
	v_fma_f64 v[12:13], v[0:1], -0.5, v[4:5]
	v_add_f64 v[0:1], v[120:121], v[128:129]
	s_delay_alu instid0(VALU_DEP_1) | instskip(NEXT) | instid1(VALU_DEP_3)
	v_fma_f64 v[14:15], v[0:1], -0.5, v[6:7]
	v_fma_f64 v[0:1], v[16:17], s[14:15], v[12:13]
	v_fma_f64 v[12:13], v[16:17], s[16:17], v[12:13]
	s_delay_alu instid0(VALU_DEP_3) | instskip(SKIP_1) | instid1(VALU_DEP_4)
	v_fma_f64 v[2:3], v[104:105], s[16:17], v[14:15]
	v_fma_f64 v[14:15], v[104:105], s[14:15], v[14:15]
	;; [unrolled: 1-line block ×3, first 2 shown]
	s_delay_alu instid0(VALU_DEP_4) | instskip(NEXT) | instid1(VALU_DEP_4)
	v_fma_f64 v[12:13], v[18:19], s[10:11], v[12:13]
	v_fma_f64 v[2:3], v[106:107], s[10:11], v[2:3]
	s_delay_alu instid0(VALU_DEP_4) | instskip(NEXT) | instid1(VALU_DEP_4)
	v_fma_f64 v[14:15], v[106:107], s[12:13], v[14:15]
	v_fma_f64 v[0:1], v[8:9], s[18:19], v[0:1]
	s_delay_alu instid0(VALU_DEP_4)
	v_fma_f64 v[100:101], v[8:9], s[18:19], v[12:13]
	v_add_f64 v[8:9], v[208:209], v[126:127]
	v_add_f64 v[12:13], v[118:119], -v[208:209]
	v_fma_f64 v[2:3], v[10:11], s[18:19], v[2:3]
	v_fma_f64 v[102:103], v[10:11], s[18:19], v[14:15]
	v_add_f64 v[10:11], v[124:125], v[116:117]
	v_add_f64 v[14:15], v[120:121], -v[124:125]
	v_fma_f64 v[8:9], v[8:9], -0.5, v[4:5]
	v_add_f64 v[4:5], v[4:5], v[118:119]
	v_add_f64 v[12:13], v[12:13], v[108:109]
	v_fma_f64 v[10:11], v[10:11], -0.5, v[6:7]
	v_add_f64 v[6:7], v[6:7], v[120:121]
	v_fma_f64 v[112:113], v[18:19], s[16:17], v[8:9]
	v_add_f64 v[4:5], v[4:5], v[208:209]
	v_fma_f64 v[8:9], v[18:19], s[14:15], v[8:9]
	;; [unrolled: 2-line block ×5, first 2 shown]
	v_fma_f64 v[8:9], v[16:17], s[10:11], v[8:9]
	v_fma_f64 v[16:17], v[104:105], s[10:11], v[18:19]
	v_add_f64 v[6:7], v[6:7], v[116:117]
	v_fma_f64 v[10:11], v[104:105], s[12:13], v[10:11]
	v_add_f64 v[4:5], v[4:5], v[122:123]
	v_fma_f64 v[104:105], v[12:13], s[18:19], v[106:107]
	v_fma_f64 v[108:109], v[12:13], s[18:19], v[8:9]
	;; [unrolled: 1-line block ×3, first 2 shown]
	v_add_f64 v[6:7], v[6:7], v[128:129]
	v_fma_f64 v[110:111], v[14:15], s[18:19], v[10:11]
	ds_store_b128 v207, v[4:7]
	ds_store_b128 v207, v[104:107] offset:32
	ds_store_b128 v207, v[0:3] offset:64
	;; [unrolled: 1-line block ×4, first 2 shown]
	s_waitcnt lgkmcnt(0)
	s_barrier
	buffer_gl0_inv
	ds_load_b128 v[0:3], v202 offset:5600
	ds_load_b128 v[4:7], v202 offset:8400
	s_waitcnt lgkmcnt(1)
	v_mul_f64 v[8:9], v[98:99], v[2:3]
	s_delay_alu instid0(VALU_DEP_1) | instskip(SKIP_1) | instid1(VALU_DEP_1)
	v_fma_f64 v[8:9], v[96:97], v[0:1], v[8:9]
	v_mul_f64 v[0:1], v[98:99], v[0:1]
	v_fma_f64 v[10:11], v[96:97], v[2:3], -v[0:1]
	ds_load_b128 v[0:3], v202 offset:11200
	ds_load_b128 v[96:99], v202 offset:14000
	s_waitcnt lgkmcnt(1)
	v_mul_f64 v[12:13], v[82:83], v[2:3]
	s_delay_alu instid0(VALU_DEP_1) | instskip(SKIP_1) | instid1(VALU_DEP_1)
	v_fma_f64 v[12:13], v[80:81], v[0:1], v[12:13]
	v_mul_f64 v[0:1], v[82:83], v[0:1]
	v_fma_f64 v[14:15], v[80:81], v[2:3], -v[0:1]
	;; [unrolled: 8-line block ×3, first 2 shown]
	ds_load_b128 v[0:3], v202 offset:22400
	ds_load_b128 v[68:71], v202 offset:25200
	s_waitcnt lgkmcnt(1)
	v_mul_f64 v[100:101], v[66:67], v[2:3]
	s_delay_alu instid0(VALU_DEP_1) | instskip(SKIP_1) | instid1(VALU_DEP_2)
	v_fma_f64 v[100:101], v[64:65], v[0:1], v[100:101]
	v_mul_f64 v[0:1], v[66:67], v[0:1]
	v_add_f64 v[106:107], v[8:9], -v[100:101]
	s_delay_alu instid0(VALU_DEP_2) | instskip(SKIP_3) | instid1(VALU_DEP_3)
	v_fma_f64 v[102:103], v[64:65], v[2:3], -v[0:1]
	v_mul_f64 v[0:1], v[90:91], v[98:99]
	v_add_f64 v[2:3], v[16:17], -v[100:101]
	v_add_f64 v[64:65], v[8:9], v[100:101]
	v_fma_f64 v[104:105], v[88:89], v[96:97], v[0:1]
	v_mul_f64 v[0:1], v[90:91], v[96:97]
	s_delay_alu instid0(VALU_DEP_1) | instskip(SKIP_2) | instid1(VALU_DEP_2)
	v_fma_f64 v[88:89], v[88:89], v[98:99], -v[0:1]
	v_mul_f64 v[0:1], v[86:87], v[82:83]
	v_add_f64 v[98:99], v[12:13], -v[16:17]
	v_fma_f64 v[90:91], v[84:85], v[80:81], v[0:1]
	v_mul_f64 v[0:1], v[86:87], v[80:81]
	s_delay_alu instid0(VALU_DEP_1) | instskip(SKIP_1) | instid1(VALU_DEP_1)
	v_fma_f64 v[80:81], v[84:85], v[82:83], -v[0:1]
	v_mul_f64 v[0:1], v[78:79], v[6:7]
	v_fma_f64 v[82:83], v[76:77], v[4:5], v[0:1]
	v_mul_f64 v[0:1], v[78:79], v[4:5]
	v_add_f64 v[78:79], v[10:11], -v[102:103]
	s_delay_alu instid0(VALU_DEP_2) | instskip(SKIP_3) | instid1(VALU_DEP_2)
	v_fma_f64 v[84:85], v[76:77], v[6:7], -v[0:1]
	s_waitcnt lgkmcnt(0)
	v_mul_f64 v[0:1], v[74:75], v[70:71]
	v_add_f64 v[76:77], v[14:15], -v[18:19]
	v_fma_f64 v[86:87], v[72:73], v[68:69], v[0:1]
	v_mul_f64 v[0:1], v[74:75], v[68:69]
	s_delay_alu instid0(VALU_DEP_1) | instskip(SKIP_1) | instid1(VALU_DEP_1)
	v_fma_f64 v[96:97], v[72:73], v[70:71], -v[0:1]
	v_add_f64 v[0:1], v[12:13], -v[8:9]
	v_add_f64 v[68:69], v[0:1], v[2:3]
	v_add_f64 v[0:1], v[14:15], -v[10:11]
	v_add_f64 v[2:3], v[18:19], -v[102:103]
	s_delay_alu instid0(VALU_DEP_1)
	v_add_f64 v[70:71], v[0:1], v[2:3]
	ds_load_b128 v[0:3], v202
	ds_load_b128 v[4:7], v202 offset:2800
	s_waitcnt lgkmcnt(0)
	s_barrier
	buffer_gl0_inv
	v_fma_f64 v[72:73], v[64:65], -0.5, v[0:1]
	v_add_f64 v[64:65], v[10:11], v[102:103]
	s_delay_alu instid0(VALU_DEP_1) | instskip(NEXT) | instid1(VALU_DEP_3)
	v_fma_f64 v[74:75], v[64:65], -0.5, v[2:3]
	v_fma_f64 v[64:65], v[76:77], s[14:15], v[72:73]
	v_fma_f64 v[72:73], v[76:77], s[16:17], v[72:73]
	s_delay_alu instid0(VALU_DEP_3) | instskip(SKIP_1) | instid1(VALU_DEP_4)
	v_fma_f64 v[66:67], v[98:99], s[16:17], v[74:75]
	v_fma_f64 v[74:75], v[98:99], s[14:15], v[74:75]
	;; [unrolled: 1-line block ×3, first 2 shown]
	s_delay_alu instid0(VALU_DEP_4) | instskip(NEXT) | instid1(VALU_DEP_4)
	v_fma_f64 v[72:73], v[78:79], s[10:11], v[72:73]
	v_fma_f64 v[66:67], v[106:107], s[10:11], v[66:67]
	s_delay_alu instid0(VALU_DEP_4) | instskip(NEXT) | instid1(VALU_DEP_4)
	v_fma_f64 v[74:75], v[106:107], s[12:13], v[74:75]
	v_fma_f64 v[64:65], v[68:69], s[18:19], v[64:65]
	s_delay_alu instid0(VALU_DEP_4) | instskip(SKIP_4) | instid1(VALU_DEP_4)
	v_fma_f64 v[68:69], v[68:69], s[18:19], v[72:73]
	v_add_f64 v[72:73], v[12:13], v[16:17]
	v_fma_f64 v[66:67], v[70:71], s[18:19], v[66:67]
	v_fma_f64 v[70:71], v[70:71], s[18:19], v[74:75]
	v_add_f64 v[74:75], v[14:15], v[18:19]
	v_fma_f64 v[72:73], v[72:73], -0.5, v[0:1]
	v_add_f64 v[0:1], v[0:1], v[8:9]
	v_add_f64 v[8:9], v[8:9], -v[12:13]
	s_delay_alu instid0(VALU_DEP_4) | instskip(SKIP_4) | instid1(VALU_DEP_4)
	v_fma_f64 v[74:75], v[74:75], -0.5, v[2:3]
	v_add_f64 v[2:3], v[2:3], v[10:11]
	v_add_f64 v[10:11], v[10:11], -v[14:15]
	v_add_f64 v[0:1], v[0:1], v[12:13]
	v_add_f64 v[12:13], v[100:101], -v[16:17]
	;; [unrolled: 2-line block ×3, first 2 shown]
	s_delay_alu instid0(VALU_DEP_4)
	v_add_f64 v[0:1], v[0:1], v[16:17]
	v_fma_f64 v[16:17], v[78:79], s[16:17], v[72:73]
	v_add_f64 v[8:9], v[8:9], v[12:13]
	v_add_f64 v[2:3], v[2:3], v[18:19]
	v_fma_f64 v[18:19], v[78:79], s[14:15], v[72:73]
	v_fma_f64 v[72:73], v[106:107], s[14:15], v[74:75]
	;; [unrolled: 1-line block ×3, first 2 shown]
	v_add_f64 v[10:11], v[10:11], v[14:15]
	v_fma_f64 v[12:13], v[76:77], s[12:13], v[16:17]
	v_add_f64 v[0:1], v[0:1], v[100:101]
	v_add_f64 v[2:3], v[2:3], v[102:103]
	v_fma_f64 v[14:15], v[76:77], s[10:11], v[18:19]
	v_fma_f64 v[16:17], v[98:99], s[10:11], v[72:73]
	;; [unrolled: 1-line block ×4, first 2 shown]
	v_add_f64 v[12:13], v[88:89], -v[80:81]
	v_fma_f64 v[76:77], v[8:9], s[18:19], v[14:15]
	v_fma_f64 v[74:75], v[10:11], s[18:19], v[16:17]
	;; [unrolled: 1-line block ×3, first 2 shown]
	ds_store_b128 v206, v[0:3]
	ds_store_b128 v206, v[72:75] offset:160
	ds_store_b128 v206, v[64:67] offset:320
	;; [unrolled: 1-line block ×4, first 2 shown]
	v_add_f64 v[0:1], v[104:105], -v[82:83]
	v_add_f64 v[2:3], v[90:91], -v[86:87]
	v_add_f64 v[8:9], v[80:81], -v[96:97]
	v_add_f64 v[10:11], v[84:85], v[96:97]
	v_add_f64 v[14:15], v[84:85], -v[96:97]
	v_add_f64 v[18:19], v[104:105], -v[90:91]
	;; [unrolled: 1-line block ×4, first 2 shown]
	v_add_f64 v[0:1], v[0:1], v[2:3]
	v_add_f64 v[2:3], v[88:89], -v[84:85]
	v_fma_f64 v[10:11], v[10:11], -0.5, v[6:7]
	s_delay_alu instid0(VALU_DEP_2) | instskip(SKIP_1) | instid1(VALU_DEP_3)
	v_add_f64 v[2:3], v[2:3], v[8:9]
	v_add_f64 v[8:9], v[82:83], v[86:87]
	v_fma_f64 v[64:65], v[18:19], s[16:17], v[10:11]
	v_fma_f64 v[10:11], v[18:19], s[14:15], v[10:11]
	s_delay_alu instid0(VALU_DEP_3) | instskip(NEXT) | instid1(VALU_DEP_3)
	v_fma_f64 v[8:9], v[8:9], -0.5, v[4:5]
	v_fma_f64 v[66:67], v[72:73], s[10:11], v[64:65]
	s_delay_alu instid0(VALU_DEP_3) | instskip(NEXT) | instid1(VALU_DEP_3)
	v_fma_f64 v[10:11], v[72:73], s[12:13], v[10:11]
	v_fma_f64 v[16:17], v[12:13], s[14:15], v[8:9]
	;; [unrolled: 1-line block ×3, first 2 shown]
	s_delay_alu instid0(VALU_DEP_4) | instskip(NEXT) | instid1(VALU_DEP_4)
	v_fma_f64 v[66:67], v[2:3], s[18:19], v[66:67]
	v_fma_f64 v[70:71], v[2:3], s[18:19], v[10:11]
	v_add_f64 v[2:3], v[6:7], v[84:85]
	v_fma_f64 v[16:17], v[14:15], s[12:13], v[16:17]
	v_fma_f64 v[8:9], v[14:15], s[10:11], v[8:9]
	s_delay_alu instid0(VALU_DEP_3) | instskip(NEXT) | instid1(VALU_DEP_3)
	v_add_f64 v[2:3], v[2:3], v[88:89]
	v_fma_f64 v[64:65], v[0:1], s[18:19], v[16:17]
	s_delay_alu instid0(VALU_DEP_3) | instskip(SKIP_3) | instid1(VALU_DEP_3)
	v_fma_f64 v[68:69], v[0:1], s[18:19], v[8:9]
	v_add_f64 v[0:1], v[104:105], v[90:91]
	v_add_f64 v[16:17], v[86:87], -v[90:91]
	v_add_f64 v[2:3], v[2:3], v[80:81]
	v_fma_f64 v[8:9], v[0:1], -0.5, v[4:5]
	v_add_f64 v[0:1], v[88:89], v[80:81]
	s_delay_alu instid0(VALU_DEP_3) | instskip(NEXT) | instid1(VALU_DEP_3)
	v_add_f64 v[2:3], v[2:3], v[96:97]
	v_fma_f64 v[76:77], v[14:15], s[16:17], v[8:9]
	s_delay_alu instid0(VALU_DEP_3)
	v_fma_f64 v[10:11], v[0:1], -0.5, v[6:7]
	v_add_f64 v[0:1], v[4:5], v[82:83]
	v_add_f64 v[4:5], v[82:83], -v[104:105]
	v_add_f64 v[6:7], v[84:85], -v[88:89]
	v_fma_f64 v[8:9], v[14:15], s[14:15], v[8:9]
	v_fma_f64 v[14:15], v[72:73], s[14:15], v[10:11]
	v_add_f64 v[0:1], v[0:1], v[104:105]
	v_fma_f64 v[10:11], v[72:73], s[16:17], v[10:11]
	v_add_f64 v[16:17], v[4:5], v[16:17]
	v_add_f64 v[74:75], v[6:7], v[74:75]
	v_fma_f64 v[4:5], v[12:13], s[12:13], v[76:77]
	v_fma_f64 v[8:9], v[12:13], s[10:11], v[8:9]
	;; [unrolled: 1-line block ×3, first 2 shown]
	v_add_f64 v[0:1], v[0:1], v[90:91]
	v_fma_f64 v[10:11], v[18:19], s[12:13], v[10:11]
	v_fma_f64 v[4:5], v[16:17], s[18:19], v[4:5]
	;; [unrolled: 1-line block ×4, first 2 shown]
	v_add_f64 v[0:1], v[0:1], v[86:87]
	v_fma_f64 v[74:75], v[74:75], s[18:19], v[10:11]
	ds_store_b128 v205, v[0:3]
	ds_store_b128 v205, v[4:7] offset:160
	ds_store_b128 v205, v[64:67] offset:320
	;; [unrolled: 1-line block ×4, first 2 shown]
	s_waitcnt lgkmcnt(0)
	s_barrier
	buffer_gl0_inv
	ds_load_b128 v[76:79], v202
	ds_load_b128 v[100:103], v202 offset:4000
	ds_load_b128 v[96:99], v202 offset:8000
	;; [unrolled: 1-line block ×6, first 2 shown]
	s_and_saveexec_b32 s0, vcc_lo
	s_cbranch_execz .LBB0_7
; %bb.6:
	ds_load_b128 v[64:67], v202 offset:2800
	ds_load_b128 v[68:71], v202 offset:6800
	;; [unrolled: 1-line block ×7, first 2 shown]
.LBB0_7:
	s_or_b32 exec_lo, exec_lo, s0
	s_waitcnt lgkmcnt(5)
	v_mul_f64 v[0:1], v[94:95], v[102:103]
	v_mul_f64 v[2:3], v[94:95], v[100:101]
	s_waitcnt lgkmcnt(4)
	v_mul_f64 v[4:5], v[134:135], v[98:99]
	v_mul_f64 v[6:7], v[134:135], v[96:97]
	;; [unrolled: 3-line block ×3, first 2 shown]
	v_mul_f64 v[12:13], v[142:143], v[90:91]
	v_mul_f64 v[14:15], v[142:143], v[88:89]
	;; [unrolled: 1-line block ×6, first 2 shown]
	s_mov_b32 s8, 0x37e14327
	s_mov_b32 s12, 0xe976ee23
	;; [unrolled: 1-line block ×20, first 2 shown]
	s_barrier
	buffer_gl0_inv
	v_fma_f64 v[0:1], v[92:93], v[100:101], v[0:1]
	v_fma_f64 v[2:3], v[92:93], v[102:103], -v[2:3]
	v_fma_f64 v[4:5], v[132:133], v[96:97], v[4:5]
	v_fma_f64 v[6:7], v[132:133], v[98:99], -v[6:7]
	;; [unrolled: 2-line block ×6, first 2 shown]
	v_add_f64 v[84:85], v[0:1], v[8:9]
	v_add_f64 v[86:87], v[2:3], v[10:11]
	;; [unrolled: 1-line block ×4, first 2 shown]
	v_add_f64 v[4:5], v[4:5], -v[12:13]
	v_add_f64 v[6:7], v[6:7], -v[14:15]
	v_add_f64 v[12:13], v[16:17], v[80:81]
	v_add_f64 v[14:15], v[18:19], v[82:83]
	v_add_f64 v[16:17], v[80:81], -v[16:17]
	v_add_f64 v[18:19], v[82:83], -v[18:19]
	;; [unrolled: 1-line block ×4, first 2 shown]
	v_add_f64 v[0:1], v[88:89], v[84:85]
	v_add_f64 v[2:3], v[90:91], v[86:87]
	v_add_f64 v[80:81], v[84:85], -v[12:13]
	v_add_f64 v[82:83], v[86:87], -v[14:15]
	;; [unrolled: 1-line block ×6, first 2 shown]
	v_add_f64 v[4:5], v[16:17], v[4:5]
	v_add_f64 v[6:7], v[18:19], v[6:7]
	v_add_f64 v[16:17], v[8:9], -v[16:17]
	v_add_f64 v[18:19], v[10:11], -v[18:19]
	v_add_f64 v[100:101], v[12:13], v[0:1]
	v_add_f64 v[102:103], v[14:15], v[2:3]
	v_add_f64 v[12:13], v[12:13], -v[88:89]
	v_add_f64 v[14:15], v[14:15], -v[90:91]
	v_mul_f64 v[80:81], v[80:81], s[8:9]
	v_mul_f64 v[82:83], v[82:83], s[8:9]
	;; [unrolled: 1-line block ×6, first 2 shown]
	v_add_f64 v[4:5], v[4:5], v[8:9]
	v_add_f64 v[6:7], v[6:7], v[10:11]
	;; [unrolled: 1-line block ×4, first 2 shown]
	v_add_f64 v[76:77], v[88:89], -v[84:85]
	v_add_f64 v[78:79], v[90:91], -v[86:87]
	v_mul_f64 v[84:85], v[12:13], s[16:17]
	v_mul_f64 v[86:87], v[14:15], s[16:17]
	v_fma_f64 v[8:9], v[12:13], s[16:17], v[80:81]
	v_fma_f64 v[10:11], v[14:15], s[16:17], v[82:83]
	;; [unrolled: 1-line block ×4, first 2 shown]
	v_fma_f64 v[88:89], v[96:97], s[0:1], -v[92:93]
	v_fma_f64 v[90:91], v[98:99], s[0:1], -v[94:95]
	;; [unrolled: 1-line block ×4, first 2 shown]
	v_fma_f64 v[92:93], v[100:101], s[10:11], v[0:1]
	v_fma_f64 v[94:95], v[102:103], s[10:11], v[2:3]
	v_fma_f64 v[80:81], v[76:77], s[18:19], -v[80:81]
	v_fma_f64 v[82:83], v[78:79], s[18:19], -v[82:83]
	;; [unrolled: 1-line block ×4, first 2 shown]
	v_fma_f64 v[12:13], v[4:5], s[24:25], v[12:13]
	v_fma_f64 v[14:15], v[6:7], s[24:25], v[14:15]
	;; [unrolled: 1-line block ×6, first 2 shown]
	v_add_f64 v[8:9], v[8:9], v[92:93]
	v_add_f64 v[10:11], v[10:11], v[94:95]
	v_add_f64 v[88:89], v[80:81], v[92:93]
	v_add_f64 v[90:91], v[82:83], v[94:95]
	v_add_f64 v[92:93], v[76:77], v[92:93]
	v_add_f64 v[94:95], v[78:79], v[94:95]
	v_add_f64 v[4:5], v[14:15], v[8:9]
	v_add_f64 v[6:7], v[10:11], -v[12:13]
	v_add_f64 v[76:77], v[18:19], v[88:89]
	v_add_f64 v[78:79], v[90:91], -v[16:17]
	v_add_f64 v[80:81], v[92:93], -v[84:85]
	v_add_f64 v[82:83], v[86:87], v[94:95]
	v_add_f64 v[84:85], v[84:85], v[92:93]
	v_add_f64 v[86:87], v[94:95], -v[86:87]
	v_add_f64 v[88:89], v[88:89], -v[18:19]
	v_add_f64 v[90:91], v[16:17], v[90:91]
	v_add_f64 v[92:93], v[8:9], -v[14:15]
	v_add_f64 v[94:95], v[12:13], v[10:11]
	ds_store_b128 v211, v[0:3]
	ds_store_b128 v211, v[4:7] offset:800
	ds_store_b128 v211, v[76:79] offset:1600
	;; [unrolled: 1-line block ×6, first 2 shown]
	s_and_saveexec_b32 s26, vcc_lo
	s_cbranch_execz .LBB0_9
; %bb.8:
	v_mul_f64 v[0:1], v[50:51], v[180:181]
	v_mul_f64 v[2:3], v[42:43], v[68:69]
	;; [unrolled: 1-line block ×12, first 2 shown]
	v_fma_f64 v[0:1], v[48:49], v[182:183], -v[0:1]
	v_fma_f64 v[2:3], v[40:41], v[70:71], -v[2:3]
	;; [unrolled: 1-line block ×4, first 2 shown]
	v_fma_f64 v[8:9], v[40:41], v[68:69], v[8:9]
	v_fma_f64 v[10:11], v[48:49], v[180:181], v[10:11]
	;; [unrolled: 1-line block ×6, first 2 shown]
	v_fma_f64 v[40:41], v[56:57], v[154:155], -v[42:43]
	v_fma_f64 v[42:43], v[60:61], v[158:159], -v[46:47]
	v_add_f64 v[44:45], v[2:3], v[0:1]
	v_add_f64 v[46:47], v[6:7], v[4:5]
	v_add_f64 v[4:5], v[6:7], -v[4:5]
	v_add_f64 v[48:49], v[8:9], v[10:11]
	v_add_f64 v[8:9], v[8:9], -v[10:11]
	;; [unrolled: 2-line block ×3, first 2 shown]
	v_add_f64 v[52:53], v[16:17], -v[18:19]
	v_add_f64 v[16:17], v[18:19], v[16:17]
	v_add_f64 v[14:15], v[40:41], v[42:43]
	v_add_f64 v[18:19], v[42:43], -v[40:41]
	v_add_f64 v[6:7], v[2:3], -v[0:1]
	v_add_f64 v[10:11], v[46:47], v[44:45]
	v_add_f64 v[0:1], v[50:51], v[48:49]
	v_add_f64 v[54:55], v[12:13], -v[8:9]
	v_add_f64 v[2:3], v[52:53], -v[12:13]
	;; [unrolled: 1-line block ×7, first 2 shown]
	v_add_f64 v[12:13], v[52:53], v[12:13]
	v_add_f64 v[4:5], v[18:19], v[4:5]
	v_add_f64 v[44:45], v[46:47], -v[44:45]
	v_add_f64 v[18:19], v[6:7], -v[18:19]
	;; [unrolled: 1-line block ×3, first 2 shown]
	v_add_f64 v[10:11], v[14:15], v[10:11]
	v_add_f64 v[14:15], v[14:15], -v[46:47]
	v_add_f64 v[60:61], v[16:17], v[0:1]
	v_add_f64 v[16:17], v[16:17], -v[50:51]
	v_mul_f64 v[52:53], v[2:3], s[12:13]
	v_mul_f64 v[42:43], v[42:43], s[8:9]
	;; [unrolled: 1-line block ×5, first 2 shown]
	v_add_f64 v[8:9], v[12:13], v[8:9]
	v_add_f64 v[4:5], v[4:5], v[6:7]
	v_add_f64 v[2:3], v[66:67], v[10:11]
	v_mul_f64 v[46:47], v[14:15], s[16:17]
	v_mul_f64 v[66:67], v[58:59], s[0:1]
	v_add_f64 v[0:1], v[64:65], v[60:61]
	v_mul_f64 v[50:51], v[16:17], s[16:17]
	v_fma_f64 v[6:7], v[62:63], s[20:21], v[52:53]
	v_fma_f64 v[52:53], v[54:55], s[0:1], -v[52:53]
	v_fma_f64 v[12:13], v[14:15], s[16:17], v[40:41]
	v_fma_f64 v[14:15], v[16:17], s[16:17], v[42:43]
	v_fma_f64 v[16:17], v[62:63], s[22:23], -v[68:69]
	v_fma_f64 v[40:41], v[44:45], s[18:19], -v[40:41]
	;; [unrolled: 1-line block ×4, first 2 shown]
	v_fma_f64 v[10:11], v[10:11], s[10:11], v[2:3]
	v_fma_f64 v[44:45], v[44:45], s[14:15], -v[46:47]
	v_fma_f64 v[46:47], v[18:19], s[20:21], v[56:57]
	v_fma_f64 v[18:19], v[18:19], s[22:23], -v[66:67]
	;; [unrolled: 2-line block ×3, first 2 shown]
	v_fma_f64 v[58:59], v[8:9], s[24:25], v[6:7]
	v_fma_f64 v[16:17], v[8:9], s[24:25], v[16:17]
	;; [unrolled: 1-line block ×3, first 2 shown]
	v_add_f64 v[12:13], v[12:13], v[10:11]
	v_add_f64 v[40:41], v[40:41], v[10:11]
	;; [unrolled: 1-line block ×3, first 2 shown]
	v_fma_f64 v[60:61], v[4:5], s[24:25], v[46:47]
	v_add_f64 v[14:15], v[14:15], v[56:57]
	v_fma_f64 v[18:19], v[4:5], s[24:25], v[18:19]
	v_add_f64 v[62:63], v[42:43], v[56:57]
	;; [unrolled: 2-line block ×3, first 2 shown]
	v_add_f64 v[6:7], v[58:59], v[12:13]
	v_add_f64 v[58:59], v[12:13], -v[58:59]
	v_add_f64 v[46:47], v[10:11], -v[8:9]
	v_add_f64 v[50:51], v[8:9], v[10:11]
	s_clause 0x1
	scratch_load_b32 v8, off, off offset:88
	scratch_load_b32 v9, off, off offset:92
	v_add_f64 v[56:57], v[60:61], v[14:15]
	v_add_f64 v[54:55], v[40:41], -v[16:17]
	v_add_f64 v[52:53], v[18:19], v[62:63]
	v_add_f64 v[48:49], v[44:45], -v[4:5]
	v_add_f64 v[44:45], v[4:5], v[44:45]
	v_add_f64 v[42:43], v[16:17], v[40:41]
	v_add_f64 v[40:41], v[62:63], -v[18:19]
	v_add_f64 v[4:5], v[14:15], -v[60:61]
	s_waitcnt vmcnt(0)
	v_mad_u16 v8, 0x15e, v8, v9
	s_delay_alu instid0(VALU_DEP_1) | instskip(NEXT) | instid1(VALU_DEP_1)
	v_and_b32_e32 v8, 0xffff, v8
	v_lshlrev_b32_e32 v8, 4, v8
	ds_store_b128 v8, v[0:3]
	ds_store_b128 v8, v[56:59] offset:800
	ds_store_b128 v8, v[52:55] offset:1600
	;; [unrolled: 1-line block ×6, first 2 shown]
.LBB0_9:
	s_or_b32 exec_lo, exec_lo, s26
	s_waitcnt lgkmcnt(0)
	s_barrier
	buffer_gl0_inv
	ds_load_b128 v[0:3], v202 offset:5600
	ds_load_b128 v[4:7], v202 offset:11200
	;; [unrolled: 1-line block ×8, first 2 shown]
	s_mov_b32 s0, 0x134454ff
	s_mov_b32 s1, 0xbfee6f0e
	;; [unrolled: 1-line block ×4, first 2 shown]
	s_waitcnt lgkmcnt(7)
	v_mul_f64 v[8:9], v[162:163], v[2:3]
	s_waitcnt lgkmcnt(6)
	v_mul_f64 v[12:13], v[178:179], v[6:7]
	v_mul_f64 v[14:15], v[178:179], v[4:5]
	s_waitcnt lgkmcnt(5)
	v_mul_f64 v[16:17], v[174:175], v[42:43]
	;; [unrolled: 3-line block ×4, first 2 shown]
	s_waitcnt lgkmcnt(2)
	v_mul_f64 v[70:71], v[190:191], v[54:55]
	v_mul_f64 v[72:73], v[190:191], v[52:53]
	s_waitcnt lgkmcnt(1)
	v_mul_f64 v[74:75], v[186:187], v[58:59]
	v_mul_f64 v[78:79], v[186:187], v[56:57]
	;; [unrolled: 1-line block ×3, first 2 shown]
	s_waitcnt lgkmcnt(0)
	v_mul_f64 v[76:77], v[198:199], v[62:63]
	v_mul_f64 v[80:81], v[194:195], v[48:49]
	;; [unrolled: 1-line block ×3, first 2 shown]
	v_fma_f64 v[8:9], v[160:161], v[0:1], v[8:9]
	v_fma_f64 v[12:13], v[176:177], v[4:5], v[12:13]
	v_fma_f64 v[14:15], v[176:177], v[6:7], -v[14:15]
	v_fma_f64 v[16:17], v[172:173], v[40:41], v[16:17]
	v_fma_f64 v[18:19], v[172:173], v[42:43], -v[18:19]
	;; [unrolled: 2-line block ×3, first 2 shown]
	v_fma_f64 v[44:45], v[192:193], v[48:49], v[68:69]
	v_fma_f64 v[46:47], v[188:189], v[52:53], v[70:71]
	v_fma_f64 v[48:49], v[188:189], v[54:55], -v[72:73]
	v_fma_f64 v[52:53], v[184:185], v[56:57], v[74:75]
	v_fma_f64 v[56:57], v[184:185], v[58:59], -v[78:79]
	v_fma_f64 v[10:11], v[160:161], v[2:3], -v[10:11]
	v_fma_f64 v[54:55], v[196:197], v[60:61], v[76:77]
	v_fma_f64 v[50:51], v[192:193], v[50:51], -v[80:81]
	v_fma_f64 v[58:59], v[196:197], v[62:63], -v[82:83]
	ds_load_b128 v[0:3], v202
	ds_load_b128 v[4:7], v202 offset:2800
	s_waitcnt lgkmcnt(1)
	v_add_f64 v[76:77], v[0:1], v[8:9]
	v_add_f64 v[60:61], v[12:13], v[16:17]
	;; [unrolled: 1-line block ×4, first 2 shown]
	v_add_f64 v[84:85], v[8:9], -v[40:41]
	s_waitcnt lgkmcnt(0)
	v_add_f64 v[88:89], v[4:5], v[44:45]
	v_add_f64 v[80:81], v[14:15], -v[18:19]
	v_add_f64 v[86:87], v[12:13], -v[16:17]
	v_add_f64 v[68:69], v[46:47], v[52:53]
	v_add_f64 v[72:73], v[48:49], v[56:57]
	;; [unrolled: 1-line block ×7, first 2 shown]
	v_add_f64 v[78:79], v[10:11], -v[42:43]
	v_add_f64 v[92:93], v[50:51], -v[58:59]
	;; [unrolled: 1-line block ×16, first 2 shown]
	v_fma_f64 v[60:61], v[60:61], -0.5, v[0:1]
	v_fma_f64 v[64:65], v[64:65], -0.5, v[2:3]
	v_fma_f64 v[0:1], v[62:63], -0.5, v[0:1]
	v_add_f64 v[62:63], v[48:49], -v[56:57]
	v_fma_f64 v[68:69], v[68:69], -0.5, v[4:5]
	v_fma_f64 v[72:73], v[72:73], -0.5, v[6:7]
	;; [unrolled: 1-line block ×3, first 2 shown]
	v_add_f64 v[66:67], v[46:47], -v[52:53]
	v_fma_f64 v[4:5], v[70:71], -0.5, v[4:5]
	v_fma_f64 v[6:7], v[74:75], -0.5, v[6:7]
	v_add_f64 v[70:71], v[8:9], -v[12:13]
	v_add_f64 v[8:9], v[12:13], -v[8:9]
	v_add_f64 v[12:13], v[76:77], v[12:13]
	v_add_f64 v[14:15], v[82:83], v[14:15]
	;; [unrolled: 1-line block ×4, first 2 shown]
	v_add_f64 v[74:75], v[40:41], -v[16:17]
	v_add_f64 v[10:11], v[10:11], v[102:103]
	v_add_f64 v[102:103], v[50:51], v[114:115]
	v_fma_f64 v[76:77], v[78:79], s[0:1], v[60:61]
	v_fma_f64 v[88:89], v[84:85], s[8:9], v[64:65]
	;; [unrolled: 1-line block ×16, first 2 shown]
	s_mov_b32 s0, 0x4755a5e
	s_mov_b32 s1, 0xbfe2cf23
	;; [unrolled: 1-line block ×4, first 2 shown]
	v_add_f64 v[12:13], v[12:13], v[16:17]
	v_add_f64 v[14:15], v[14:15], v[18:19]
	;; [unrolled: 1-line block ×10, first 2 shown]
	v_fma_f64 v[44:45], v[80:81], s[0:1], v[76:77]
	v_fma_f64 v[56:57], v[86:87], s[8:9], v[88:89]
	;; [unrolled: 1-line block ×16, first 2 shown]
	s_mov_b32 s0, 0x372fe950
	s_mov_b32 s1, 0x3fd3c6ef
	s_mul_i32 s8, s4, 0xffffd440
	v_add_f64 v[0:1], v[12:13], v[40:41]
	v_add_f64 v[2:3], v[14:15], v[42:43]
	;; [unrolled: 1-line block ×4, first 2 shown]
	v_fma_f64 v[40:41], v[70:71], s[0:1], v[44:45]
	v_fma_f64 v[42:43], v[74:75], s[0:1], v[56:57]
	;; [unrolled: 1-line block ×16, first 2 shown]
	v_mad_u64_u32 v[10:11], null, s4, v255, 0
	s_mul_i32 s0, s5, 0x36b0
	s_mul_hi_u32 s1, s4, 0x36b0
	ds_store_b128 v202, v[0:3]
	ds_store_b128 v202, v[4:7] offset:2800
	ds_store_b128 v202, v[40:43] offset:5600
	;; [unrolled: 1-line block ×9, first 2 shown]
	s_waitcnt lgkmcnt(0)
	s_barrier
	buffer_gl0_inv
	ds_load_b128 v[0:3], v202
	ds_load_b128 v[4:7], v202 offset:14000
	scratch_load_b64 v[8:9], off, off       ; 8-byte Folded Reload
	ds_load_b128 v[40:43], v202 offset:2800
	ds_load_b128 v[44:47], v202 offset:16800
	;; [unrolled: 1-line block ×8, first 2 shown]
	s_clause 0x1
	scratch_load_b128 v[98:101], off, off offset:8
	scratch_load_b128 v[108:111], off, off offset:72
	s_add_i32 s9, s1, s0
	s_waitcnt lgkmcnt(8)
	v_mul_f64 v[17:18], v[22:23], v[6:7]
	v_mul_f64 v[22:23], v[22:23], v[4:5]
	s_waitcnt lgkmcnt(3)
	v_mul_f64 v[88:89], v[26:27], v[58:59]
	v_mul_f64 v[26:27], v[26:27], v[56:57]
	;; [unrolled: 3-line block ×5, first 2 shown]
	v_fma_f64 v[4:5], v[20:21], v[4:5], v[17:18]
	v_fma_f64 v[6:7], v[20:21], v[6:7], -v[22:23]
	v_fma_f64 v[26:27], v[24:25], v[58:59], -v[26:27]
	;; [unrolled: 1-line block ×5, first 2 shown]
	s_waitcnt vmcnt(2)
	v_mov_b32_e32 v14, v8
	s_waitcnt vmcnt(1)
	v_mul_f64 v[15:16], v[100:101], v[0:1]
	s_waitcnt vmcnt(0)
	v_mul_f64 v[76:77], v[110:111], v[46:47]
	v_mad_u64_u32 v[8:9], null, s6, v14, 0
	v_mul_f64 v[78:79], v[110:111], v[44:45]
	s_mul_i32 s6, s4, 0x36b0
	s_delay_alu instid0(VALU_DEP_2) | instskip(SKIP_3) | instid1(SALU_CYCLE_1)
	v_mad_u64_u32 v[12:13], null, s7, v14, v[9:10]
	v_mul_f64 v[13:14], v[100:101], v[2:3]
	scratch_load_b128 v[100:103], off, off offset:24 ; 16-byte Folded Reload
	s_mul_hi_u32 s7, s4, 0xffffd440
	s_sub_i32 s0, s7, s4
	v_mov_b32_e32 v9, v12
	v_mad_u64_u32 v[96:97], null, s5, v255, v[11:12]
	s_mulk_i32 s5, 0xd440
	s_delay_alu instid0(VALU_DEP_2) | instskip(NEXT) | instid1(VALU_DEP_2)
	v_lshlrev_b64 v[8:9], 4, v[8:9]
	v_mov_b32_e32 v11, v96
	s_delay_alu instid0(VALU_DEP_2) | instskip(NEXT) | instid1(VALU_DEP_3)
	v_add_co_u32 v96, vcc_lo, s2, v8
	v_add_co_ci_u32_e32 v97, vcc_lo, s3, v9, vcc_lo
	s_delay_alu instid0(VALU_DEP_3)
	v_lshlrev_b64 v[10:11], 4, v[10:11]
	s_add_i32 s2, s0, s5
	s_mov_b32 s0, 0x835d548e
	s_mov_b32 s1, 0x3f42b97d
	v_fma_f64 v[2:3], v[98:99], v[2:3], -v[15:16]
	v_mul_f64 v[4:5], v[4:5], s[0:1]
	v_mul_f64 v[6:7], v[6:7], s[0:1]
	;; [unrolled: 1-line block ×3, first 2 shown]
	v_fma_f64 v[16:17], v[108:109], v[46:47], -v[78:79]
	v_fma_f64 v[46:47], v[32:33], v[64:65], v[92:93]
	v_mul_f64 v[30:31], v[30:31], s[0:1]
	v_mul_f64 v[34:35], v[34:35], s[0:1]
	;; [unrolled: 1-line block ×3, first 2 shown]
	v_fma_f64 v[0:1], v[98:99], v[0:1], v[13:14]
	v_fma_f64 v[14:15], v[108:109], v[44:45], v[76:77]
	;; [unrolled: 1-line block ×3, first 2 shown]
	v_mul_f64 v[2:3], v[2:3], s[0:1]
	v_mul_f64 v[32:33], v[46:47], s[0:1]
	;; [unrolled: 1-line block ×3, first 2 shown]
	s_delay_alu instid0(VALU_DEP_4)
	v_mul_f64 v[28:29], v[44:45], s[0:1]
	s_waitcnt vmcnt(0)
	v_mul_f64 v[72:73], v[102:103], v[42:43]
	v_mul_f64 v[74:75], v[102:103], v[40:41]
	scratch_load_b128 v[102:105], off, off offset:40 ; 16-byte Folded Reload
	v_fma_f64 v[8:9], v[100:101], v[40:41], v[72:73]
	v_fma_f64 v[12:13], v[100:101], v[42:43], -v[74:75]
	v_fma_f64 v[42:43], v[24:25], v[56:57], v[88:89]
	s_delay_alu instid0(VALU_DEP_3) | instskip(NEXT) | instid1(VALU_DEP_2)
	v_mul_f64 v[8:9], v[8:9], s[0:1]
	v_mul_f64 v[24:25], v[42:43], s[0:1]
	s_waitcnt vmcnt(0)
	v_mul_f64 v[80:81], v[104:105], v[50:51]
	v_mul_f64 v[82:83], v[104:105], v[48:49]
	scratch_load_b128 v[104:107], off, off offset:56 ; 16-byte Folded Reload
	v_fma_f64 v[18:19], v[102:103], v[48:49], v[80:81]
	v_fma_f64 v[20:21], v[102:103], v[50:51], -v[82:83]
	v_fma_f64 v[48:49], v[36:37], v[68:69], v[94:95]
	v_add_co_u32 v50, vcc_lo, v96, v10
	v_add_co_ci_u32_e32 v51, vcc_lo, v97, v11, vcc_lo
	v_mul_f64 v[10:11], v[12:13], s[0:1]
	v_mul_f64 v[12:13], v[14:15], s[0:1]
	;; [unrolled: 1-line block ×6, first 2 shown]
	s_waitcnt vmcnt(0)
	v_mul_f64 v[84:85], v[106:107], v[54:55]
	v_mul_f64 v[86:87], v[106:107], v[52:53]
	s_delay_alu instid0(VALU_DEP_2) | instskip(NEXT) | instid1(VALU_DEP_2)
	v_fma_f64 v[22:23], v[104:105], v[52:53], v[84:85]
	v_fma_f64 v[40:41], v[104:105], v[54:55], -v[86:87]
	v_add_co_u32 v52, vcc_lo, v50, s6
	v_add_co_ci_u32_e32 v53, vcc_lo, s9, v51, vcc_lo
	s_delay_alu instid0(VALU_DEP_2) | instskip(NEXT) | instid1(VALU_DEP_2)
	v_add_co_u32 v54, vcc_lo, v52, s8
	v_add_co_ci_u32_e32 v55, vcc_lo, s2, v53, vcc_lo
	s_delay_alu instid0(VALU_DEP_2) | instskip(NEXT) | instid1(VALU_DEP_2)
	v_add_co_u32 v56, vcc_lo, v54, s6
	v_add_co_ci_u32_e32 v57, vcc_lo, s9, v55, vcc_lo
	v_mul_f64 v[20:21], v[22:23], s[0:1]
	v_mul_f64 v[22:23], v[40:41], s[0:1]
	s_delay_alu instid0(VALU_DEP_4) | instskip(NEXT) | instid1(VALU_DEP_4)
	v_add_co_u32 v40, vcc_lo, v56, s8
	v_add_co_ci_u32_e32 v41, vcc_lo, s2, v57, vcc_lo
	s_delay_alu instid0(VALU_DEP_2) | instskip(NEXT) | instid1(VALU_DEP_2)
	v_add_co_u32 v42, vcc_lo, v40, s6
	v_add_co_ci_u32_e32 v43, vcc_lo, s9, v41, vcc_lo
	s_delay_alu instid0(VALU_DEP_2) | instskip(NEXT) | instid1(VALU_DEP_2)
	;; [unrolled: 3-line block ×5, first 2 shown]
	v_add_co_u32 v58, vcc_lo, v48, s6
	v_add_co_ci_u32_e32 v59, vcc_lo, s9, v49, vcc_lo
	s_clause 0x4
	global_store_b128 v[50:51], v[0:3], off
	global_store_b128 v[52:53], v[4:7], off
	;; [unrolled: 1-line block ×10, first 2 shown]
.LBB0_10:
	s_nop 0
	s_sendmsg sendmsg(MSG_DEALLOC_VGPRS)
	s_endpgm
	.section	.rodata,"a",@progbits
	.p2align	6, 0x0
	.amdhsa_kernel bluestein_single_back_len1750_dim1_dp_op_CI_CI
		.amdhsa_group_segment_fixed_size 28000
		.amdhsa_private_segment_fixed_size 116
		.amdhsa_kernarg_size 104
		.amdhsa_user_sgpr_count 15
		.amdhsa_user_sgpr_dispatch_ptr 0
		.amdhsa_user_sgpr_queue_ptr 0
		.amdhsa_user_sgpr_kernarg_segment_ptr 1
		.amdhsa_user_sgpr_dispatch_id 0
		.amdhsa_user_sgpr_private_segment_size 0
		.amdhsa_wavefront_size32 1
		.amdhsa_uses_dynamic_stack 0
		.amdhsa_enable_private_segment 1
		.amdhsa_system_sgpr_workgroup_id_x 1
		.amdhsa_system_sgpr_workgroup_id_y 0
		.amdhsa_system_sgpr_workgroup_id_z 0
		.amdhsa_system_sgpr_workgroup_info 0
		.amdhsa_system_vgpr_workitem_id 0
		.amdhsa_next_free_vgpr 256
		.amdhsa_next_free_sgpr 30
		.amdhsa_reserve_vcc 1
		.amdhsa_float_round_mode_32 0
		.amdhsa_float_round_mode_16_64 0
		.amdhsa_float_denorm_mode_32 3
		.amdhsa_float_denorm_mode_16_64 3
		.amdhsa_dx10_clamp 1
		.amdhsa_ieee_mode 1
		.amdhsa_fp16_overflow 0
		.amdhsa_workgroup_processor_mode 1
		.amdhsa_memory_ordered 1
		.amdhsa_forward_progress 0
		.amdhsa_shared_vgpr_count 0
		.amdhsa_exception_fp_ieee_invalid_op 0
		.amdhsa_exception_fp_denorm_src 0
		.amdhsa_exception_fp_ieee_div_zero 0
		.amdhsa_exception_fp_ieee_overflow 0
		.amdhsa_exception_fp_ieee_underflow 0
		.amdhsa_exception_fp_ieee_inexact 0
		.amdhsa_exception_int_div_zero 0
	.end_amdhsa_kernel
	.text
.Lfunc_end0:
	.size	bluestein_single_back_len1750_dim1_dp_op_CI_CI, .Lfunc_end0-bluestein_single_back_len1750_dim1_dp_op_CI_CI
                                        ; -- End function
	.section	.AMDGPU.csdata,"",@progbits
; Kernel info:
; codeLenInByte = 18204
; NumSgprs: 32
; NumVgprs: 256
; ScratchSize: 116
; MemoryBound: 0
; FloatMode: 240
; IeeeMode: 1
; LDSByteSize: 28000 bytes/workgroup (compile time only)
; SGPRBlocks: 3
; VGPRBlocks: 31
; NumSGPRsForWavesPerEU: 32
; NumVGPRsForWavesPerEU: 256
; Occupancy: 5
; WaveLimiterHint : 1
; COMPUTE_PGM_RSRC2:SCRATCH_EN: 1
; COMPUTE_PGM_RSRC2:USER_SGPR: 15
; COMPUTE_PGM_RSRC2:TRAP_HANDLER: 0
; COMPUTE_PGM_RSRC2:TGID_X_EN: 1
; COMPUTE_PGM_RSRC2:TGID_Y_EN: 0
; COMPUTE_PGM_RSRC2:TGID_Z_EN: 0
; COMPUTE_PGM_RSRC2:TIDIG_COMP_CNT: 0
	.text
	.p2alignl 7, 3214868480
	.fill 96, 4, 3214868480
	.type	__hip_cuid_fc9dcb9abab6701a,@object ; @__hip_cuid_fc9dcb9abab6701a
	.section	.bss,"aw",@nobits
	.globl	__hip_cuid_fc9dcb9abab6701a
__hip_cuid_fc9dcb9abab6701a:
	.byte	0                               ; 0x0
	.size	__hip_cuid_fc9dcb9abab6701a, 1

	.ident	"AMD clang version 19.0.0git (https://github.com/RadeonOpenCompute/llvm-project roc-6.4.0 25133 c7fe45cf4b819c5991fe208aaa96edf142730f1d)"
	.section	".note.GNU-stack","",@progbits
	.addrsig
	.addrsig_sym __hip_cuid_fc9dcb9abab6701a
	.amdgpu_metadata
---
amdhsa.kernels:
  - .args:
      - .actual_access:  read_only
        .address_space:  global
        .offset:         0
        .size:           8
        .value_kind:     global_buffer
      - .actual_access:  read_only
        .address_space:  global
        .offset:         8
        .size:           8
        .value_kind:     global_buffer
      - .actual_access:  read_only
        .address_space:  global
        .offset:         16
        .size:           8
        .value_kind:     global_buffer
      - .actual_access:  read_only
        .address_space:  global
        .offset:         24
        .size:           8
        .value_kind:     global_buffer
      - .actual_access:  read_only
        .address_space:  global
        .offset:         32
        .size:           8
        .value_kind:     global_buffer
      - .offset:         40
        .size:           8
        .value_kind:     by_value
      - .address_space:  global
        .offset:         48
        .size:           8
        .value_kind:     global_buffer
      - .address_space:  global
        .offset:         56
        .size:           8
        .value_kind:     global_buffer
      - .address_space:  global
        .offset:         64
        .size:           8
        .value_kind:     global_buffer
      - .address_space:  global
        .offset:         72
        .size:           8
        .value_kind:     global_buffer
      - .offset:         80
        .size:           4
        .value_kind:     by_value
      - .address_space:  global
        .offset:         88
        .size:           8
        .value_kind:     global_buffer
      - .address_space:  global
        .offset:         96
        .size:           8
        .value_kind:     global_buffer
    .group_segment_fixed_size: 28000
    .kernarg_segment_align: 8
    .kernarg_segment_size: 104
    .language:       OpenCL C
    .language_version:
      - 2
      - 0
    .max_flat_workgroup_size: 175
    .name:           bluestein_single_back_len1750_dim1_dp_op_CI_CI
    .private_segment_fixed_size: 116
    .sgpr_count:     32
    .sgpr_spill_count: 0
    .symbol:         bluestein_single_back_len1750_dim1_dp_op_CI_CI.kd
    .uniform_work_group_size: 1
    .uses_dynamic_stack: false
    .vgpr_count:     256
    .vgpr_spill_count: 28
    .wavefront_size: 32
    .workgroup_processor_mode: 1
amdhsa.target:   amdgcn-amd-amdhsa--gfx1100
amdhsa.version:
  - 1
  - 2
...

	.end_amdgpu_metadata
